;; amdgpu-corpus repo=ROCm/rocFFT kind=compiled arch=gfx1030 opt=O3
	.text
	.amdgcn_target "amdgcn-amd-amdhsa--gfx1030"
	.amdhsa_code_object_version 6
	.protected	bluestein_single_fwd_len935_dim1_half_op_CI_CI ; -- Begin function bluestein_single_fwd_len935_dim1_half_op_CI_CI
	.globl	bluestein_single_fwd_len935_dim1_half_op_CI_CI
	.p2align	8
	.type	bluestein_single_fwd_len935_dim1_half_op_CI_CI,@function
bluestein_single_fwd_len935_dim1_half_op_CI_CI: ; @bluestein_single_fwd_len935_dim1_half_op_CI_CI
; %bb.0:
	s_load_dwordx4 s[0:3], s[4:5], 0x28
	v_mul_u32_u24_e32 v1, 0x304, v0
	v_lshrrev_b32_e32 v1, 16, v1
	v_mad_u64_u32 v[20:21], null, s6, 3, v[1:2]
	v_mov_b32_e32 v21, 0
	s_waitcnt lgkmcnt(0)
	v_cmp_gt_u64_e32 vcc_lo, s[0:1], v[20:21]
	s_and_saveexec_b32 s0, vcc_lo
	s_cbranch_execz .LBB0_23
; %bb.1:
	v_mul_hi_u32 v2, 0xaaaaaaab, v20
	s_clause 0x1
	s_load_dwordx2 s[8:9], s[4:5], 0x0
	s_load_dwordx2 s[10:11], s[4:5], 0x38
	v_mul_lo_u16 v1, 0x55, v1
	v_sub_nc_u16 v0, v0, v1
	v_lshrrev_b32_e32 v2, 1, v2
	v_and_b32_e32 v44, 0xffff, v0
	v_lshl_add_u32 v2, v2, 1, v2
	v_cmp_gt_u16_e32 vcc_lo, 55, v0
	v_lshlrev_b32_e32 v43, 2, v44
	v_sub_nc_u32_e32 v1, v20, v2
	v_mul_u32_u24_e32 v45, 0x3a7, v1
	v_lshlrev_b32_e32 v46, 2, v45
	s_and_saveexec_b32 s1, vcc_lo
	s_cbranch_execz .LBB0_3
; %bb.2:
	s_load_dwordx2 s[6:7], s[4:5], 0x18
	s_waitcnt lgkmcnt(0)
	s_load_dwordx4 s[12:15], s[6:7], 0x0
	s_waitcnt lgkmcnt(0)
	v_mad_u64_u32 v[0:1], null, s14, v20, 0
	v_mad_u64_u32 v[2:3], null, s12, v44, 0
	s_mul_i32 s6, s13, 0xdc
	s_mul_hi_u32 s7, s12, 0xdc
	v_mad_u64_u32 v[4:5], null, s15, v20, v[1:2]
	v_mad_u64_u32 v[5:6], null, s13, v44, v[3:4]
	v_mov_b32_e32 v1, v4
	global_load_dword v6, v43, s[8:9]
	v_lshlrev_b64 v[0:1], 2, v[0:1]
	v_mov_b32_e32 v3, v5
	v_add_co_u32 v0, s0, s2, v0
	v_lshlrev_b64 v[2:3], 2, v[2:3]
	v_add_co_ci_u32_e64 v1, s0, s3, v1, s0
	s_mul_i32 s2, s12, 0xdc
	s_add_i32 s3, s7, s6
	v_add_co_u32 v0, s0, v0, v2
	v_add_co_ci_u32_e64 v1, s0, v1, v3, s0
	v_add_co_u32 v2, s0, v0, s2
	v_add_co_ci_u32_e64 v3, s0, s3, v1, s0
	s_clause 0x1
	global_load_dword v7, v[0:1], off
	global_load_dword v8, v[2:3], off
	v_add_co_u32 v4, s0, v2, s2
	v_add_co_ci_u32_e64 v5, s0, s3, v3, s0
	v_add_co_u32 v0, s0, v4, s2
	v_add_co_ci_u32_e64 v1, s0, s3, v5, s0
	v_add_co_u32 v9, s0, s8, v43
	v_add_co_ci_u32_e64 v10, null, s9, 0, s0
	s_clause 0x1
	global_load_dword v11, v43, s[8:9] offset:220
	global_load_dword v12, v43, s[8:9] offset:440
	s_clause 0x1
	global_load_dword v13, v[4:5], off
	global_load_dword v14, v[0:1], off
	v_add_co_u32 v0, s0, v0, s2
	v_add_co_ci_u32_e64 v1, s0, s3, v1, s0
	s_clause 0x4
	global_load_dword v15, v43, s[8:9] offset:660
	global_load_dword v16, v43, s[8:9] offset:880
	;; [unrolled: 1-line block ×5, first 2 shown]
	global_load_dword v21, v[0:1], off
	v_add_co_u32 v0, s0, v0, s2
	v_add_co_ci_u32_e64 v1, s0, s3, v1, s0
	s_clause 0x1
	global_load_dword v22, v43, s[8:9] offset:1760
	global_load_dword v23, v43, s[8:9] offset:1980
	v_add_co_u32 v2, s0, v0, s2
	v_add_co_ci_u32_e64 v3, s0, s3, v1, s0
	global_load_dword v24, v[0:1], off
	v_add_co_u32 v0, s0, v2, s2
	v_add_co_ci_u32_e64 v1, s0, s3, v3, s0
	global_load_dword v25, v[2:3], off
	;; [unrolled: 3-line block ×4, first 2 shown]
	v_add_co_u32 v2, s0, v0, s2
	v_add_co_ci_u32_e64 v3, s0, s3, v1, s0
	v_add_co_u32 v4, s0, 0x800, v9
	v_add_co_ci_u32_e64 v5, s0, 0, v10, s0
	global_load_dword v9, v[0:1], off
	global_load_dword v10, v[2:3], off
	v_add_co_u32 v0, s0, v2, s2
	v_add_co_ci_u32_e64 v1, s0, s3, v3, s0
	s_clause 0x3
	global_load_dword v28, v[4:5], off offset:152
	global_load_dword v29, v[4:5], off offset:372
	;; [unrolled: 1-line block ×4, first 2 shown]
	v_add_co_u32 v2, s0, v0, s2
	v_add_co_ci_u32_e64 v3, s0, s3, v1, s0
	global_load_dword v32, v[0:1], off
	v_add_co_u32 v0, s0, v2, s2
	v_add_co_ci_u32_e64 v1, s0, s3, v3, s0
	global_load_dword v33, v[2:3], off
	;; [unrolled: 3-line block ×4, first 2 shown]
	v_add_co_u32 v2, s0, v0, s2
	v_add_co_ci_u32_e64 v3, s0, s3, v1, s0
	global_load_dword v36, v[4:5], off offset:1032
	global_load_dword v0, v[0:1], off
	global_load_dword v1, v[2:3], off
	s_clause 0x1
	global_load_dword v2, v[4:5], off offset:1252
	global_load_dword v3, v[4:5], off offset:1472
	v_lshl_add_u32 v5, v44, 2, v46
	v_add_nc_u32_e32 v4, v46, v43
	v_add_nc_u32_e32 v38, 0x400, v4
	;; [unrolled: 1-line block ×5, first 2 shown]
	s_waitcnt vmcnt(32)
	v_lshrrev_b32_e32 v37, 16, v7
	v_mul_f16_sdwa v40, v6, v7 dst_sel:DWORD dst_unused:UNUSED_PAD src0_sel:WORD_1 src1_sel:DWORD
	s_waitcnt vmcnt(31)
	v_lshrrev_b32_e32 v47, 16, v8
	v_mul_f16_sdwa v42, v6, v37 dst_sel:DWORD dst_unused:UNUSED_PAD src0_sel:WORD_1 src1_sel:DWORD
	v_fma_f16 v37, v6, v37, -v40
	v_fmac_f16_e32 v42, v6, v7
	s_waitcnt vmcnt(30)
	v_mul_f16_sdwa v40, v11, v8 dst_sel:DWORD dst_unused:UNUSED_PAD src0_sel:WORD_1 src1_sel:DWORD
	v_mul_f16_sdwa v6, v11, v47 dst_sel:DWORD dst_unused:UNUSED_PAD src0_sel:WORD_1 src1_sel:DWORD
	s_waitcnt vmcnt(28)
	v_lshrrev_b32_e32 v7, 16, v13
	v_mul_f16_sdwa v49, v12, v13 dst_sel:DWORD dst_unused:UNUSED_PAD src0_sel:WORD_1 src1_sel:DWORD
	v_pack_b32_f16 v37, v42, v37
	v_fma_f16 v40, v11, v47, -v40
	v_fmac_f16_e32 v6, v11, v8
	v_mul_f16_sdwa v8, v12, v7 dst_sel:DWORD dst_unused:UNUSED_PAD src0_sel:WORD_1 src1_sel:DWORD
	s_waitcnt vmcnt(27)
	v_lshrrev_b32_e32 v11, 16, v14
	v_fma_f16 v7, v12, v7, -v49
	s_waitcnt vmcnt(26)
	v_mul_f16_sdwa v42, v15, v14 dst_sel:DWORD dst_unused:UNUSED_PAD src0_sel:WORD_1 src1_sel:DWORD
	ds_write_b32 v5, v37
	v_pack_b32_f16 v5, v6, v40
	v_fmac_f16_e32 v8, v12, v13
	v_mul_f16_sdwa v6, v15, v11 dst_sel:DWORD dst_unused:UNUSED_PAD src0_sel:WORD_1 src1_sel:DWORD
	s_waitcnt vmcnt(21)
	v_lshrrev_b32_e32 v12, 16, v21
	v_mul_f16_sdwa v13, v16, v21 dst_sel:DWORD dst_unused:UNUSED_PAD src0_sel:WORD_1 src1_sel:DWORD
	v_fma_f16 v11, v15, v11, -v42
	v_pack_b32_f16 v7, v8, v7
	v_fmac_f16_e32 v6, v15, v14
	v_mul_f16_sdwa v8, v16, v12 dst_sel:DWORD dst_unused:UNUSED_PAD src0_sel:WORD_1 src1_sel:DWORD
	v_fma_f16 v12, v16, v12, -v13
	s_waitcnt vmcnt(18)
	v_lshrrev_b32_e32 v13, 16, v24
	v_mul_f16_sdwa v14, v17, v24 dst_sel:DWORD dst_unused:UNUSED_PAD src0_sel:WORD_1 src1_sel:DWORD
	ds_write2_b32 v4, v5, v7 offset0:55 offset1:110
	v_pack_b32_f16 v5, v6, v11
	v_fmac_f16_e32 v8, v16, v21
	v_mul_f16_sdwa v6, v17, v13 dst_sel:DWORD dst_unused:UNUSED_PAD src0_sel:WORD_1 src1_sel:DWORD
	s_waitcnt vmcnt(17)
	v_lshrrev_b32_e32 v7, 16, v25
	v_mul_f16_sdwa v11, v18, v25 dst_sel:DWORD dst_unused:UNUSED_PAD src0_sel:WORD_1 src1_sel:DWORD
	v_fma_f16 v13, v17, v13, -v14
	v_pack_b32_f16 v8, v8, v12
	v_fmac_f16_e32 v6, v17, v24
	v_mul_f16_sdwa v12, v18, v7 dst_sel:DWORD dst_unused:UNUSED_PAD src0_sel:WORD_1 src1_sel:DWORD
	v_fma_f16 v7, v18, v7, -v11
	s_waitcnt vmcnt(16)
	v_lshrrev_b32_e32 v11, 16, v26
	v_mul_f16_sdwa v14, v19, v26 dst_sel:DWORD dst_unused:UNUSED_PAD src0_sel:WORD_1 src1_sel:DWORD
	ds_write2_b32 v4, v5, v8 offset0:165 offset1:220
	;; [unrolled: 15-line block ×3, first 2 shown]
	v_pack_b32_f16 v5, v6, v11
	v_fmac_f16_e32 v12, v22, v27
	v_mul_f16_sdwa v6, v23, v13 dst_sel:DWORD dst_unused:UNUSED_PAD src0_sel:WORD_1 src1_sel:DWORD
	s_waitcnt vmcnt(13)
	v_lshrrev_b32_e32 v7, 16, v10
	v_fma_f16 v11, v23, v13, -v14
	s_waitcnt vmcnt(12)
	v_mul_f16_sdwa v13, v28, v10 dst_sel:DWORD dst_unused:UNUSED_PAD src0_sel:WORD_1 src1_sel:DWORD
	v_pack_b32_f16 v8, v12, v8
	v_fmac_f16_e32 v6, v23, v9
	v_mul_f16_sdwa v9, v28, v7 dst_sel:DWORD dst_unused:UNUSED_PAD src0_sel:WORD_1 src1_sel:DWORD
	s_waitcnt vmcnt(8)
	v_lshrrev_b32_e32 v12, 16, v32
	v_mul_f16_sdwa v14, v29, v32 dst_sel:DWORD dst_unused:UNUSED_PAD src0_sel:WORD_1 src1_sel:DWORD
	v_fma_f16 v7, v28, v7, -v13
	v_pack_b32_f16 v6, v6, v11
	v_fmac_f16_e32 v9, v28, v10
	v_mul_f16_sdwa v10, v29, v12 dst_sel:DWORD dst_unused:UNUSED_PAD src0_sel:WORD_1 src1_sel:DWORD
	v_fma_f16 v11, v29, v12, -v14
	s_waitcnt vmcnt(7)
	v_lshrrev_b32_e32 v12, 16, v33
	v_mul_f16_sdwa v13, v30, v33 dst_sel:DWORD dst_unused:UNUSED_PAD src0_sel:WORD_1 src1_sel:DWORD
	v_pack_b32_f16 v7, v9, v7
	v_fmac_f16_e32 v10, v29, v32
	s_waitcnt vmcnt(6)
	v_lshrrev_b32_e32 v9, 16, v34
	v_mul_f16_sdwa v14, v30, v12 dst_sel:DWORD dst_unused:UNUSED_PAD src0_sel:WORD_1 src1_sel:DWORD
	v_fma_f16 v12, v30, v12, -v13
	v_mul_f16_sdwa v13, v31, v34 dst_sel:DWORD dst_unused:UNUSED_PAD src0_sel:WORD_1 src1_sel:DWORD
	s_waitcnt vmcnt(5)
	v_lshrrev_b32_e32 v15, 16, v35
	v_pack_b32_f16 v10, v10, v11
	v_mul_f16_sdwa v11, v31, v9 dst_sel:DWORD dst_unused:UNUSED_PAD src0_sel:WORD_1 src1_sel:DWORD
	s_waitcnt vmcnt(3)
	v_lshrrev_b32_e32 v16, 16, v0
	v_fma_f16 v9, v31, v9, -v13
	v_mul_f16_sdwa v13, v36, v35 dst_sel:DWORD dst_unused:UNUSED_PAD src0_sel:WORD_1 src1_sel:DWORD
	s_waitcnt vmcnt(2)
	v_lshrrev_b32_e32 v18, 16, v1
	v_mul_f16_sdwa v17, v36, v15 dst_sel:DWORD dst_unused:UNUSED_PAD src0_sel:WORD_1 src1_sel:DWORD
	s_waitcnt vmcnt(1)
	v_mul_f16_sdwa v19, v2, v16 dst_sel:DWORD dst_unused:UNUSED_PAD src0_sel:WORD_1 src1_sel:DWORD
	s_waitcnt vmcnt(0)
	v_mul_f16_sdwa v21, v3, v1 dst_sel:DWORD dst_unused:UNUSED_PAD src0_sel:WORD_1 src1_sel:DWORD
	v_fma_f16 v13, v36, v15, -v13
	v_mul_f16_sdwa v15, v2, v0 dst_sel:DWORD dst_unused:UNUSED_PAD src0_sel:WORD_1 src1_sel:DWORD
	v_mul_f16_sdwa v22, v3, v18 dst_sel:DWORD dst_unused:UNUSED_PAD src0_sel:WORD_1 src1_sel:DWORD
	v_fmac_f16_e32 v14, v30, v33
	v_fmac_f16_e32 v11, v31, v34
	;; [unrolled: 1-line block ×3, first 2 shown]
	v_fma_f16 v15, v2, v16, -v15
	v_fmac_f16_e32 v19, v2, v0
	v_fma_f16 v0, v3, v18, -v21
	v_fmac_f16_e32 v22, v3, v1
	v_pack_b32_f16 v1, v14, v12
	v_pack_b32_f16 v2, v11, v9
	;; [unrolled: 1-line block ×5, first 2 shown]
	v_add_nc_u32_e32 v4, 0xc00, v4
	ds_write2_b32 v38, v5, v8 offset0:129 offset1:184
	ds_write2_b32 v39, v6, v7 offset0:111 offset1:166
	;; [unrolled: 1-line block ×5, first 2 shown]
.LBB0_3:
	s_or_b32 exec_lo, exec_lo, s1
	s_clause 0x1
	s_load_dwordx2 s[0:1], s[4:5], 0x20
	s_load_dwordx2 s[2:3], s[4:5], 0x8
	v_mov_b32_e32 v6, 0
	s_waitcnt lgkmcnt(0)
	s_barrier
	buffer_gl0_inv
                                        ; implicit-def: $vgpr16
                                        ; implicit-def: $vgpr1
                                        ; implicit-def: $vgpr3
                                        ; implicit-def: $vgpr5
                                        ; implicit-def: $vgpr9
                                        ; implicit-def: $vgpr11
                                        ; implicit-def: $vgpr15
                                        ; implicit-def: $vgpr13
                                        ; implicit-def: $vgpr52
	s_and_saveexec_b32 s4, vcc_lo
	s_cbranch_execz .LBB0_5
; %bb.4:
	v_lshl_add_u32 v16, v45, 2, v43
	v_add_nc_u32_e32 v0, 0x200, v16
	v_add_nc_u32_e32 v1, 0x400, v16
	;; [unrolled: 1-line block ×3, first 2 shown]
	ds_read2_b32 v[6:7], v16 offset1:55
	ds_read2_b32 v[12:13], v16 offset0:110 offset1:165
	v_add_nc_u32_e32 v17, 0xc00, v16
	ds_read2_b32 v[14:15], v0 offset0:92 offset1:147
	ds_read2_b32 v[10:11], v1 offset0:74 offset1:129
	;; [unrolled: 1-line block ×6, first 2 shown]
	ds_read_b32 v16, v16 offset:3520
	s_waitcnt lgkmcnt(7)
	v_alignbit_b32 v52, v12, v12, 16
.LBB0_5:
	s_or_b32 exec_lo, exec_lo, s4
	s_waitcnt lgkmcnt(0)
	v_pk_add_f16 v18, v7, v16 neg_lo:[0,1] neg_hi:[0,1]
	v_mov_b32_e32 v21, 0xbbf7
	v_mov_b32_e32 v24, 0xbbb2
	v_pk_add_f16 v12, v16, v7
	v_pk_add_f16 v17, v1, v52 op_sel:[1,0] op_sel_hi:[0,1]
	v_pk_add_f16 v19, v52, v1 op_sel:[1,0] op_sel_hi:[0,1] neg_lo:[0,1] neg_hi:[0,1]
	v_mul_f16_sdwa v38, v18, v21 dst_sel:DWORD dst_unused:UNUSED_PAD src0_sel:WORD_1 src1_sel:DWORD
	v_mov_b32_e32 v22, 0xb1e1
	v_mul_f16_sdwa v55, v18, v24 dst_sel:DWORD dst_unused:UNUSED_PAD src0_sel:WORD_1 src1_sel:DWORD
	v_lshrrev_b32_e32 v58, 16, v17
	v_mov_b32_e32 v26, 0x3836
	v_fmamk_f16 v23, v12, 0x2de8, v38
	v_mul_f16_sdwa v48, v19, v22 dst_sel:DWORD dst_unused:UNUSED_PAD src0_sel:WORD_1 src1_sel:DWORD
	v_fmamk_f16 v25, v12, 0xb461, v55
	v_mov_b32_e32 v40, 0x3bb2
	v_mul_f16_sdwa v56, v19, v26 dst_sel:DWORD dst_unused:UNUSED_PAD src0_sel:WORD_1 src1_sel:DWORD
	v_add_f16_e32 v23, v23, v6
	v_fmamk_f16 v27, v58, 0xbbdd, v48
	v_pk_add_f16 v26, v13, v0 neg_lo:[0,1] neg_hi:[0,1]
	v_mov_b32_e32 v41, 0x3964
	v_mov_b32_e32 v39, 0xbb29
	v_add_f16_e32 v25, v25, v6
	v_add_f16_e32 v27, v27, v23
	v_fmamk_f16 v28, v58, 0xbacd, v56
	v_pk_add_f16 v23, v0, v13
	v_mul_f16_sdwa v53, v26, v40 dst_sel:DWORD dst_unused:UNUSED_PAD src0_sel:WORD_1 src1_sel:DWORD
	v_mul_f16_sdwa v59, v26, v41 dst_sel:DWORD dst_unused:UNUSED_PAD src0_sel:WORD_1 src1_sel:DWORD
	v_pk_add_f16 v30, v14, v3 neg_lo:[0,1] neg_hi:[0,1]
	v_mov_b32_e32 v29, 0x35c8
	v_add_f16_e32 v28, v28, v25
	v_fmamk_f16 v31, v23, 0xb461, v53
	v_fmamk_f16 v33, v23, 0x39e9, v59
	v_pk_add_f16 v25, v3, v14
	v_mul_f16_sdwa v54, v30, v29 dst_sel:DWORD dst_unused:UNUSED_PAD src0_sel:WORD_1 src1_sel:DWORD
	v_mul_f16_sdwa v63, v30, v39 dst_sel:DWORD dst_unused:UNUSED_PAD src0_sel:WORD_1 src1_sel:DWORD
	v_pk_add_f16 v32, v15, v2 neg_lo:[0,1] neg_hi:[0,1]
	v_add_f16_e32 v27, v31, v27
	v_add_f16_e32 v28, v33, v28
	v_fmamk_f16 v31, v25, 0x3b76, v54
	v_fmamk_f16 v33, v25, 0x3722, v63
	v_pk_add_f16 v29, v2, v15
	v_mul_f16_sdwa v57, v32, v39 dst_sel:DWORD dst_unused:UNUSED_PAD src0_sel:WORD_1 src1_sel:DWORD
	v_mov_b32_e32 v42, 0xb836
	v_add_f16_e32 v27, v31, v27
	v_add_f16_e32 v28, v33, v28
	v_pk_add_f16 v33, v10, v5 neg_lo:[0,1] neg_hi:[0,1]
	v_fmamk_f16 v31, v29, 0x3722, v57
	v_mul_f16_sdwa v66, v32, v22 dst_sel:DWORD dst_unused:UNUSED_PAD src0_sel:WORD_1 src1_sel:DWORD
	v_mov_b32_e32 v47, 0x3bf7
	v_pk_add_f16 v34, v11, v4 neg_lo:[0,1] neg_hi:[0,1]
	v_mul_f16_sdwa v60, v33, v42 dst_sel:DWORD dst_unused:UNUSED_PAD src0_sel:WORD_1 src1_sel:DWORD
	v_add_f16_e32 v27, v31, v27
	v_pk_add_f16 v31, v5, v10
	v_mov_b32_e32 v36, 0x3a62
	v_fmamk_f16 v37, v29, 0xbbdd, v66
	v_mul_f16_sdwa v70, v33, v47 dst_sel:DWORD dst_unused:UNUSED_PAD src0_sel:WORD_1 src1_sel:DWORD
	v_pk_add_f16 v35, v4, v11
	v_fmamk_f16 v49, v31, 0xbacd, v60
	v_mul_f16_sdwa v64, v34, v36 dst_sel:DWORD dst_unused:UNUSED_PAD src0_sel:WORD_1 src1_sel:DWORD
	v_mov_b32_e32 v50, 0xb5c8
	v_add_f16_e32 v28, v37, v28
	v_fmamk_f16 v37, v31, 0x2de8, v70
	v_add_f16_e32 v27, v49, v27
	v_fmamk_f16 v49, v35, 0xb8d2, v64
	v_mul_f16_sdwa v72, v34, v50 dst_sel:DWORD dst_unused:UNUSED_PAD src0_sel:WORD_1 src1_sel:DWORD
	v_pk_add_f16 v36, v8, v9 neg_lo:[0,1] neg_hi:[0,1]
	v_mov_b32_e32 v51, 0xba62
	v_add_f16_e32 v28, v37, v28
	v_add_f16_e32 v27, v49, v27
	v_fmamk_f16 v49, v35, 0x3b76, v72
	v_pk_add_f16 v37, v9, v8
	v_mul_f16_sdwa v65, v36, v41 dst_sel:DWORD dst_unused:UNUSED_PAD src0_sel:WORD_1 src1_sel:DWORD
	v_mul_f16_sdwa v61, v18, v50 dst_sel:DWORD dst_unused:UNUSED_PAD src0_sel:WORD_1 src1_sel:DWORD
	v_mov_b32_e32 v85, 0xb964
	v_mul_f16_sdwa v75, v36, v51 dst_sel:DWORD dst_unused:UNUSED_PAD src0_sel:WORD_1 src1_sel:DWORD
	v_add_f16_e32 v49, v49, v28
	v_fmamk_f16 v28, v37, 0x39e9, v65
	v_fmamk_f16 v67, v12, 0x3b76, v61
	v_mul_f16_sdwa v62, v19, v85 dst_sel:DWORD dst_unused:UNUSED_PAD src0_sel:WORD_1 src1_sel:DWORD
	v_lshrrev_b32_e32 v102, 16, v12
	v_mul_f16_e32 v68, 0xb964, v18
	v_fmamk_f16 v69, v37, 0xb8d2, v75
	v_add_f16_e32 v67, v67, v6
	v_fmamk_f16 v71, v58, 0x39e9, v62
	v_add_f16_e32 v28, v28, v27
	v_fma_f16 v74, v102, 0x39e9, -v68
	v_add_f16_e32 v27, v69, v49
	v_mul_f16_sdwa v73, v18, v39 dst_sel:DWORD dst_unused:UNUSED_PAD src0_sel:WORD_1 src1_sel:DWORD
	v_mul_f16_e32 v69, 0xbbf7, v19
	v_add_f16_e32 v49, v71, v67
	v_add_f16_sdwa v67, v74, v6 dst_sel:DWORD dst_unused:UNUSED_PAD src0_sel:DWORD src1_sel:WORD_1
	v_mul_f16_sdwa v74, v19, v51 dst_sel:DWORD dst_unused:UNUSED_PAD src0_sel:WORD_1 src1_sel:DWORD
	v_fmamk_f16 v71, v12, 0x3722, v73
	v_fma_f16 v77, v17, 0x2de8, -v69
	v_mul_f16_e32 v91, 0xbbf7, v18
	v_mul_f16_e32 v92, 0xb1e1, v19
	v_fmamk_f16 v80, v58, 0xb8d2, v74
	v_add_f16_e32 v71, v71, v6
	v_add_f16_e32 v82, v77, v67
	v_fma_f16 v67, v102, 0x2de8, -v91
	v_mul_f16_e32 v78, 0xbb29, v18
	v_mul_f16_sdwa v132, v18, v51 dst_sel:DWORD dst_unused:UNUSED_PAD src0_sel:WORD_1 src1_sel:DWORD
	v_add_f16_e32 v71, v80, v71
	v_fma_f16 v80, v17, 0xbbdd, -v92
	v_add_f16_sdwa v67, v67, v6 dst_sel:DWORD dst_unused:UNUSED_PAD src0_sel:DWORD src1_sel:WORD_1
	v_mul_f16_e32 v100, 0xba62, v18
	v_fma_f16 v76, v102, 0x3722, -v78
	v_mul_f16_e32 v79, 0xba62, v19
	v_mul_f16_e32 v113, 0xbbb2, v18
	v_fmamk_f16 v83, v12, 0xb8d2, v132
	v_mul_f16_sdwa v133, v19, v40 dst_sel:DWORD dst_unused:UNUSED_PAD src0_sel:WORD_1 src1_sel:DWORD
	v_add_f16_e32 v84, v80, v67
	v_fma_f16 v80, v102, 0xb8d2, -v100
	v_mul_f16_e32 v138, 0x3bb2, v19
	v_mul_f16_sdwa v67, v26, v39 dst_sel:DWORD dst_unused:UNUSED_PAD src0_sel:WORD_1 src1_sel:DWORD
	v_mov_b32_e32 v39, 0x31e1
	v_add_f16_sdwa v76, v76, v6 dst_sel:DWORD dst_unused:UNUSED_PAD src0_sel:DWORD src1_sel:WORD_1
	v_fma_f16 v81, v17, 0xb8d2, -v79
	v_fma_f16 v77, v102, 0xb461, -v113
	v_mul_f16_e32 v114, 0x3836, v19
	v_add_f16_e32 v83, v83, v6
	v_fmamk_f16 v86, v58, 0xb461, v133
	v_add_f16_sdwa v87, v80, v6 dst_sel:DWORD dst_unused:UNUSED_PAD src0_sel:DWORD src1_sel:WORD_1
	v_fma_f16 v88, v17, 0xb461, -v138
	v_mul_f16_sdwa v80, v26, v39 dst_sel:DWORD dst_unused:UNUSED_PAD src0_sel:WORD_1 src1_sel:DWORD
	v_add_f16_e32 v76, v81, v76
	v_add_f16_sdwa v77, v77, v6 dst_sel:DWORD dst_unused:UNUSED_PAD src0_sel:DWORD src1_sel:WORD_1
	v_fma_f16 v81, v17, 0xbacd, -v114
	v_lshrrev_b32_e32 v112, 16, v23
	v_fmamk_f16 v89, v23, 0x3722, v67
	v_add_f16_e32 v39, v86, v83
	v_add_f16_e32 v86, v88, v87
	v_fmamk_f16 v83, v23, 0xbbdd, v80
	v_mul_f16_e32 v87, 0x31e1, v26
	v_mul_f16_e32 v98, 0x3bb2, v26
	;; [unrolled: 1-line block ×3, first 2 shown]
	v_add_f16_e32 v81, v81, v77
	v_mul_f16_e32 v77, 0xba62, v26
	v_add_f16_e32 v49, v89, v49
	v_add_f16_e32 v88, v83, v71
	v_fma_f16 v71, v112, 0xbbdd, -v87
	v_fma_f16 v83, v112, 0xb461, -v98
	;; [unrolled: 1-line block ×3, first 2 shown]
	v_mul_f16_e32 v141, 0xb5c8, v26
	v_fma_f16 v90, v112, 0xb8d2, -v77
	v_mul_f16_sdwa v137, v26, v50 dst_sel:DWORD dst_unused:UNUSED_PAD src0_sel:WORD_1 src1_sel:DWORD
	v_add_f16_e32 v76, v71, v76
	v_add_f16_e32 v94, v83, v84
	;; [unrolled: 1-line block ×3, first 2 shown]
	v_fma_f16 v89, v112, 0x3b76, -v141
	v_mul_f16_sdwa v71, v30, v21 dst_sel:DWORD dst_unused:UNUSED_PAD src0_sel:WORD_1 src1_sel:DWORD
	v_lshrrev_b32_e32 v125, 16, v25
	v_mul_f16_e32 v83, 0xb1e1, v30
	v_add_f16_e32 v82, v90, v82
	v_fmamk_f16 v90, v23, 0x3b76, v137
	v_mul_f16_sdwa v84, v30, v40 dst_sel:DWORD dst_unused:UNUSED_PAD src0_sel:WORD_1 src1_sel:DWORD
	v_mul_f16_e32 v93, 0x3bb2, v30
	v_add_f16_e32 v40, v89, v86
	v_fmamk_f16 v86, v25, 0x2de8, v71
	v_fma_f16 v89, v125, 0xbbdd, -v83
	v_mul_f16_e32 v105, 0x35c8, v30
	v_add_f16_e32 v39, v90, v39
	v_fmamk_f16 v90, v25, 0xb461, v84
	v_fma_f16 v95, v125, 0xb461, -v93
	v_add_f16_e32 v49, v86, v49
	v_add_f16_e32 v86, v89, v82
	v_fma_f16 v82, v125, 0x3b76, -v105
	v_mul_f16_e32 v134, 0xbb29, v30
	v_mul_f16_sdwa v143, v30, v42 dst_sel:DWORD dst_unused:UNUSED_PAD src0_sel:WORD_1 src1_sel:DWORD
	v_add_f16_e32 v88, v90, v88
	v_add_f16_e32 v89, v95, v76
	v_mul_f16_e32 v144, 0xb836, v30
	v_mul_f16_sdwa v76, v32, v24 dst_sel:DWORD dst_unused:UNUSED_PAD src0_sel:WORD_1 src1_sel:DWORD
	v_add_f16_e32 v24, v82, v94
	v_fma_f16 v90, v125, 0x3722, -v134
	v_fmamk_f16 v94, v25, 0xbacd, v143
	v_lshrrev_b32_e32 v127, 16, v29
	v_mul_f16_e32 v82, 0x3836, v32
	v_fma_f16 v95, v125, 0xbacd, -v144
	v_fmamk_f16 v96, v29, 0xb461, v76
	v_add_f16_e32 v81, v90, v81
	v_add_f16_e32 v39, v94, v39
	v_fma_f16 v94, v127, 0xbacd, -v82
	v_mul_f16_sdwa v90, v32, v41 dst_sel:DWORD dst_unused:UNUSED_PAD src0_sel:WORD_1 src1_sel:DWORD
	v_mul_f16_e32 v97, 0x3964, v32
	v_mul_f16_e32 v119, 0xbb29, v32
	;; [unrolled: 1-line block ×3, first 2 shown]
	v_add_f16_e32 v40, v95, v40
	v_add_f16_e32 v49, v96, v49
	;; [unrolled: 1-line block ×3, first 2 shown]
	v_fmamk_f16 v86, v29, 0x39e9, v90
	v_fma_f16 v94, v127, 0x39e9, -v97
	v_fma_f16 v95, v127, 0x3722, -v119
	;; [unrolled: 1-line block ×3, first 2 shown]
	v_mul_f16_sdwa v146, v32, v47 dst_sel:DWORD dst_unused:UNUSED_PAD src0_sel:WORD_1 src1_sel:DWORD
	v_mul_f16_e32 v147, 0x3bf7, v32
	v_add_f16_e32 v47, v86, v88
	v_add_f16_e32 v89, v94, v89
	;; [unrolled: 1-line block ×4, first 2 shown]
	v_fmamk_f16 v95, v29, 0x2de8, v146
	v_mul_f16_sdwa v81, v33, v51 dst_sel:DWORD dst_unused:UNUSED_PAD src0_sel:WORD_1 src1_sel:DWORD
	v_lshrrev_b32_e32 v131, 16, v31
	v_mul_f16_e32 v86, 0x3bb2, v33
	v_mul_f16_sdwa v88, v33, v50 dst_sel:DWORD dst_unused:UNUSED_PAD src0_sel:WORD_1 src1_sel:DWORD
	v_fma_f16 v50, v127, 0x2de8, -v147
	v_mul_f16_e32 v101, 0xb5c8, v33
	v_add_f16_e32 v39, v95, v39
	v_fmamk_f16 v51, v31, 0xb8d2, v81
	v_fma_f16 v95, v131, 0xb461, -v86
	v_add_f16_e32 v40, v50, v40
	v_fma_f16 v50, v131, 0x3b76, -v101
	v_mul_f16_e32 v126, 0xb836, v33
	v_mul_f16_e32 v142, 0x3bf7, v33
	v_mul_f16_sdwa v148, v33, v85 dst_sel:DWORD dst_unused:UNUSED_PAD src0_sel:WORD_1 src1_sel:DWORD
	v_fmamk_f16 v96, v31, 0x3b76, v88
	v_add_f16_e32 v49, v51, v49
	v_add_f16_e32 v41, v95, v41
	v_mul_f16_e32 v150, 0xb964, v33
	v_add_f16_e32 v50, v50, v89
	v_fma_f16 v51, v131, 0xbacd, -v126
	v_fma_f16 v89, v131, 0x2de8, -v142
	v_fmamk_f16 v95, v31, 0x39e9, v148
	v_mul_f16_sdwa v85, v34, v42 dst_sel:DWORD dst_unused:UNUSED_PAD src0_sel:WORD_1 src1_sel:DWORD
	v_add_f16_e32 v47, v96, v47
	v_fma_f16 v96, v131, 0x39e9, -v150
	v_add_f16_e32 v24, v51, v24
	v_add_f16_e32 v51, v89, v94
	;; [unrolled: 1-line block ×3, first 2 shown]
	v_fmamk_f16 v89, v35, 0xbacd, v85
	v_lshrrev_b32_e32 v135, 16, v35
	v_mul_f16_e32 v94, 0x3b29, v34
	v_mul_f16_sdwa v95, v34, v21 dst_sel:DWORD dst_unused:UNUSED_PAD src0_sel:WORD_1 src1_sel:DWORD
	v_mul_f16_e32 v109, 0xbbf7, v34
	v_add_f16_e32 v40, v96, v40
	v_add_f16_e32 v21, v89, v49
	v_fma_f16 v49, v135, 0x3722, -v94
	v_fmamk_f16 v89, v35, 0x2de8, v95
	v_fma_f16 v96, v135, 0x2de8, -v109
	v_mul_f16_e32 v145, 0xb5c8, v34
	v_mul_f16_e32 v130, 0x3a62, v34
	v_add_f16_e32 v41, v49, v41
	v_add_f16_e32 v47, v89, v47
	;; [unrolled: 1-line block ×3, first 2 shown]
	v_fma_f16 v49, v135, 0x3b76, -v145
	v_mul_f16_e32 v152, 0xb1e1, v34
	v_mul_f16_sdwa v89, v36, v22 dst_sel:DWORD dst_unused:UNUSED_PAD src0_sel:WORD_1 src1_sel:DWORD
	v_lshrrev_b32_e32 v139, 16, v37
	v_mul_f16_e32 v96, 0x35c8, v36
	v_fma_f16 v99, v135, 0xb8d2, -v130
	v_add_f16_e32 v51, v49, v51
	v_fma_f16 v49, v135, 0xbbdd, -v152
	v_fmamk_f16 v50, v37, 0xbbdd, v89
	v_fma_f16 v104, v139, 0x3b76, -v96
	v_add_f16_e32 v24, v99, v24
	v_mul_f16_sdwa v151, v34, v22 dst_sel:DWORD dst_unused:UNUSED_PAD src0_sel:WORD_1 src1_sel:DWORD
	v_mul_f16_sdwa v99, v36, v42 dst_sel:DWORD dst_unused:UNUSED_PAD src0_sel:WORD_1 src1_sel:DWORD
	v_add_f16_e32 v42, v49, v40
	v_add_f16_e32 v49, v50, v21
	;; [unrolled: 1-line block ×3, first 2 shown]
	v_pk_mul_f16 v41, 0x3b7639e9, v12
	v_fmamk_f16 v22, v35, 0xbbdd, v151
	v_fmamk_f16 v21, v37, 0xbacd, v99
	v_mul_f16_e32 v129, 0xb836, v36
	v_mul_f16_e32 v140, 0x3964, v36
	v_pk_mul_f16 v107, 0xbbf7b964, v19
	v_pk_fma_f16 v106, 0xb964b5c8, v18, v41 op_sel:[0,0,1] op_sel_hi:[1,1,0] neg_lo:[0,1,0] neg_hi:[0,1,0]
	v_pk_fma_f16 v116, 0xb964b5c8, v18, v41 op_sel:[0,0,1] op_sel_hi:[1,1,0]
	v_add_f16_e32 v22, v22, v39
	v_add_f16_e32 v21, v21, v47
	v_fma_f16 v39, v139, 0xbacd, -v129
	v_fma_f16 v40, v139, 0x39e9, -v140
	v_pk_fma_f16 v104, 0x2de839e9, v17, v107 neg_lo:[0,0,1] neg_hi:[0,0,1]
	v_add_f16_sdwa v47, v106, v6 dst_sel:DWORD dst_unused:UNUSED_PAD src0_sel:DWORD src1_sel:WORD_1
	v_pk_mul_f16 v108, 0x3722b8d2, v23
	v_pk_fma_f16 v117, 0x2de839e9, v17, v107
	v_add_f16_sdwa v110, v116, v6 dst_sel:DWORD dst_unused:UNUSED_PAD src0_sel:WORD_1 src1_sel:DWORD
	v_add_f16_e32 v39, v39, v103
	v_add_f16_e32 v40, v40, v24
	;; [unrolled: 1-line block ×3, first 2 shown]
	v_pk_fma_f16 v103, 0xba62bb29, v26, v108 op_sel:[0,0,1] op_sel_hi:[1,1,0] neg_lo:[0,1,0] neg_hi:[0,1,0]
	v_pk_mul_f16 v41, 0x2de8bbdd, v25
	v_pk_fma_f16 v111, 0xba62bb29, v26, v108 op_sel:[0,0,1] op_sel_hi:[1,1,0]
	v_add_f16_sdwa v110, v117, v110 dst_sel:DWORD dst_unused:UNUSED_PAD src0_sel:WORD_1 src1_sel:DWORD
	v_pk_mul_f16 v115, 0xb461bacd, v29
	v_add_f16_e32 v24, v103, v24
	v_pk_fma_f16 v107, 0xb1e1bbf7, v30, v41 op_sel:[0,0,1] op_sel_hi:[1,1,0] neg_lo:[0,1,0] neg_hi:[0,1,0]
	v_pk_fma_f16 v118, 0xb1e1bbf7, v30, v41 op_sel:[0,0,1] op_sel_hi:[1,1,0]
	v_add_f16_sdwa v41, v111, v110 dst_sel:DWORD dst_unused:UNUSED_PAD src0_sel:WORD_1 src1_sel:DWORD
	v_pk_fma_f16 v108, 0x3836bbb2, v32, v115 op_sel:[0,0,1] op_sel_hi:[1,1,0] neg_lo:[0,1,0] neg_hi:[0,1,0]
	v_pk_mul_f16 v120, 0xb8d2b461, v31
	v_add_f16_e32 v24, v107, v24
	v_pk_fma_f16 v115, 0x3836bbb2, v32, v115 op_sel:[0,0,1] op_sel_hi:[1,1,0]
	v_add_f16_sdwa v41, v118, v41 dst_sel:DWORD dst_unused:UNUSED_PAD src0_sel:WORD_1 src1_sel:DWORD
	v_pk_mul_f16 v122, 0xbacd3722, v35
	v_pk_fma_f16 v110, 0x3bb2ba62, v33, v120 op_sel:[0,0,1] op_sel_hi:[1,1,0] neg_lo:[0,1,0] neg_hi:[0,1,0]
	v_add_f16_e32 v24, v108, v24
	v_pk_fma_f16 v120, 0x3bb2ba62, v33, v120 op_sel:[0,0,1] op_sel_hi:[1,1,0]
	v_mov_b32_e32 v124, 0x3b29
	v_add_f16_sdwa v41, v115, v41 dst_sel:DWORD dst_unused:UNUSED_PAD src0_sel:WORD_1 src1_sel:DWORD
	v_mul_f16_e32 v149, 0xba62, v36
	v_mul_f16_e32 v153, 0x3b29, v36
	v_add_f16_e32 v24, v110, v24
	v_pk_fma_f16 v121, 0x3b29b836, v34, v122 op_sel:[0,0,1] op_sel_hi:[1,1,0] neg_lo:[0,1,0] neg_hi:[0,1,0]
	v_pk_mul_f16 v156, 0xbbdd3b76, v37
	v_pk_fma_f16 v123, 0x3b29b836, v34, v122 op_sel:[0,0,1] op_sel_hi:[1,1,0]
	v_mul_f16_sdwa v154, v36, v124 dst_sel:DWORD dst_unused:UNUSED_PAD src0_sel:WORD_1 src1_sel:DWORD
	v_add_f16_sdwa v41, v120, v41 dst_sel:DWORD dst_unused:UNUSED_PAD src0_sel:WORD_1 src1_sel:DWORD
	v_fma_f16 v47, v139, 0xb8d2, -v149
	v_fma_f16 v155, v139, 0x3722, -v153
	v_add_f16_e32 v24, v121, v24
	v_pk_fma_f16 v122, 0x35c8b1e1, v36, v156 op_sel:[0,0,1] op_sel_hi:[1,1,0] neg_lo:[0,1,0] neg_hi:[0,1,0]
	v_pk_fma_f16 v124, 0x35c8b1e1, v36, v156 op_sel:[0,0,1] op_sel_hi:[1,1,0]
	v_fmamk_f16 v156, v37, 0x3722, v154
	v_add_f16_sdwa v157, v123, v41 dst_sel:DWORD dst_unused:UNUSED_PAD src0_sel:WORD_1 src1_sel:DWORD
	v_add_f16_e32 v41, v47, v51
	v_add_f16_e32 v42, v155, v42
	;; [unrolled: 1-line block ×4, first 2 shown]
	v_add_f16_sdwa v22, v124, v157 dst_sel:DWORD dst_unused:UNUSED_PAD src0_sel:WORD_1 src1_sel:DWORD
	v_mul_lo_u16 v47, v44, 17
	s_barrier
	buffer_gl0_inv
	s_and_saveexec_b32 s4, vcc_lo
	s_cbranch_execz .LBB0_7
; %bb.6:
	v_mul_f16_e32 v155, 0xb8d2, v102
	v_mul_f16_e32 v156, 0xb461, v17
	;; [unrolled: 1-line block ×5, first 2 shown]
	v_add_f16_e32 v155, v100, v155
	v_add_f16_e32 v138, v138, v156
	v_sub_f16_e32 v132, v160, v132
	v_mul_f16_e32 v156, 0x3b76, v23
	v_add_f16_e32 v141, v141, v157
	v_add_f16_sdwa v155, v155, v6 dst_sel:DWORD dst_unused:UNUSED_PAD src0_sel:DWORD src1_sel:WORD_1
	v_sub_f16_e32 v133, v161, v133
	v_add_f16_e32 v132, v132, v6
	v_sub_f16_e32 v137, v156, v137
	v_mul_f16_e32 v158, 0xbacd, v125
	v_add_f16_e32 v138, v138, v155
	v_mul_f16_e32 v159, 0x2de8, v127
	v_add_f16_e32 v132, v133, v132
	;; [unrolled: 2-line block ×3, first 2 shown]
	v_add_f16_e32 v138, v141, v138
	v_mul_f16_e32 v141, 0xbacd, v25
	v_add_f16_e32 v132, v137, v132
	v_mul_f16_e32 v155, 0x39e9, v131
	v_add_f16_e32 v147, v147, v159
	v_add_f16_e32 v138, v144, v138
	v_sub_f16_e32 v137, v141, v143
	v_mul_f16_e32 v143, 0x2de8, v29
	v_mul_f16_e32 v133, 0x3722, v102
	;; [unrolled: 1-line block ×4, first 2 shown]
	v_add_f16_e32 v132, v137, v132
	v_sub_f16_e32 v143, v143, v146
	v_mul_f16_e32 v146, 0x39e9, v31
	v_mul_f16_e32 v137, 0xbbdd, v135
	v_add_f16_e32 v144, v150, v155
	v_add_f16_e32 v138, v147, v138
	;; [unrolled: 1-line block ×3, first 2 shown]
	v_sub_f16_e32 v143, v146, v148
	v_mul_f16_e32 v148, 0xbbdd, v35
	v_add_f16_e32 v137, v152, v137
	v_add_f16_e32 v102, v113, v102
	v_mul_f16_e32 v113, 0xbacd, v17
	v_add_f16_e32 v132, v143, v132
	v_sub_f16_e32 v148, v148, v151
	v_mul_f16_e32 v152, 0x3722, v37
	v_add_f16_e32 v138, v144, v138
	v_mul_f16_e32 v144, 0xb461, v12
	v_add_f16_sdwa v102, v102, v6 dst_sel:DWORD dst_unused:UNUSED_PAD src0_sel:DWORD src1_sel:WORD_1
	v_add_f16_e32 v132, v148, v132
	v_add_f16_e32 v113, v114, v113
	v_mul_f16_e32 v114, 0x39e9, v112
	v_sub_f16_e32 v152, v152, v154
	v_mul_f16_e32 v150, 0x39e9, v58
	v_add_f16_e32 v137, v137, v138
	v_mul_f16_e32 v138, 0xb8d2, v58
	v_mul_f16_e32 v148, 0xbbdd, v58
	;; [unrolled: 1-line block ×3, first 2 shown]
	v_add_f16_e32 v102, v113, v102
	v_add_f16_e32 v114, v128, v114
	;; [unrolled: 1-line block ×3, first 2 shown]
	v_mul_f16_e32 v152, 0x3722, v125
	v_sub_f16_e32 v55, v144, v55
	v_sub_f16_e32 v56, v58, v56
	v_add_f16_e32 v102, v114, v102
	v_mul_f16_e32 v143, 0x3722, v139
	v_add_f16_e32 v134, v134, v152
	v_mul_f16_e32 v152, 0xbbdd, v127
	;; [unrolled: 2-line block ×3, first 2 shown]
	v_add_f16_e32 v143, v153, v143
	v_add_f16_e32 v102, v134, v102
	;; [unrolled: 1-line block ×4, first 2 shown]
	v_mul_f16_e32 v56, 0x2de8, v131
	v_mul_f16_e32 v153, 0xbbdd, v17
	v_sub_f16_e32 v58, v58, v59
	v_add_f16_e32 v102, v136, v102
	v_mul_f16_e32 v136, 0x3722, v25
	v_add_f16_e32 v56, v142, v56
	v_add_f16_e32 v91, v91, v141
	v_mul_f16_e32 v128, 0xb8d2, v112
	v_mul_f16_e32 v114, 0xbbdd, v112
	;; [unrolled: 1-line block ×3, first 2 shown]
	v_add_f16_e32 v55, v58, v55
	v_sub_f16_e32 v63, v136, v63
	v_add_f16_e32 v56, v56, v102
	v_mul_f16_e32 v102, 0xbbdd, v29
	v_add_f16_e32 v92, v92, v153
	v_add_f16_sdwa v91, v91, v6 dst_sel:DWORD dst_unused:UNUSED_PAD src0_sel:DWORD src1_sel:WORD_1
	v_mul_f16_e32 v147, 0x2de8, v12
	v_mul_f16_e32 v152, 0xbbdd, v125
	;; [unrolled: 1-line block ×4, first 2 shown]
	v_add_f16_e32 v55, v63, v55
	v_mul_f16_e32 v63, 0xb8d2, v139
	v_sub_f16_e32 v66, v102, v66
	v_add_f16_e32 v91, v92, v91
	v_add_f16_e32 v98, v98, v112
	v_mul_f16_e32 v102, 0xbacd, v127
	v_add_f16_e32 v63, v149, v63
	v_mul_f16_e32 v149, 0x2de8, v31
	;; [unrolled: 2-line block ×3, first 2 shown]
	v_mul_f16_e32 v127, 0x3722, v127
	v_add_f16_e32 v91, v98, v91
	v_add_f16_e32 v105, v105, v125
	v_sub_f16_e32 v38, v147, v38
	v_mul_f16_e32 v144, 0xb461, v23
	v_sub_f16_e32 v70, v149, v70
	v_mul_f16_e32 v149, 0x3b76, v35
	v_sub_f16_e32 v48, v148, v48
	v_add_f16_e32 v38, v38, v6
	v_add_f16_e32 v91, v105, v91
	;; [unrolled: 1-line block ×3, first 2 shown]
	v_mul_f16_e32 v151, 0xb8d2, v17
	v_mul_f16_e32 v136, 0x3b76, v25
	v_add_f16_e32 v55, v70, v55
	v_mul_f16_e32 v70, 0xb461, v131
	v_sub_f16_e32 v72, v149, v72
	v_mul_f16_e32 v92, 0x3b76, v131
	v_mul_f16_e32 v131, 0xbacd, v131
	v_add_f16_e32 v38, v48, v38
	v_sub_f16_e32 v53, v144, v53
	v_add_f16_e32 v91, v119, v91
	v_mul_f16_e32 v119, 0xb8d2, v37
	v_add_f16_e32 v78, v78, v133
	v_mul_f16_e32 v58, 0x3b76, v135
	v_mul_f16_e32 v141, 0x3722, v29
	v_add_f16_e32 v55, v72, v55
	v_mul_f16_e32 v72, 0x3722, v135
	v_mul_f16_e32 v125, 0x2de8, v135
	;; [unrolled: 1-line block ×3, first 2 shown]
	v_add_f16_e32 v126, v126, v131
	v_add_f16_e32 v38, v53, v38
	v_sub_f16_e32 v53, v136, v54
	v_sub_f16_e32 v54, v119, v75
	v_add_f16_sdwa v75, v78, v6 dst_sel:DWORD dst_unused:UNUSED_PAD src0_sel:DWORD src1_sel:WORD_1
	v_add_f16_e32 v78, v79, v151
	v_mul_f16_e32 v112, 0xbacd, v31
	v_add_f16_e32 v79, v126, v91
	v_add_f16_e32 v38, v53, v38
	v_sub_f16_e32 v53, v141, v57
	v_add_f16_e32 v57, v130, v135
	v_add_f16_e32 v75, v78, v75
	;; [unrolled: 1-line block ×3, first 2 shown]
	v_mul_f16_e32 v157, 0x3722, v12
	v_mul_f16_e32 v147, 0xb8d2, v35
	v_add_f16_e32 v54, v54, v55
	v_add_f16_e32 v38, v53, v38
	v_sub_f16_e32 v53, v112, v60
	v_add_f16_e32 v55, v57, v79
	v_add_f16_e32 v57, v78, v75
	;; [unrolled: 1-line block ×3, first 2 shown]
	v_mul_f16_e32 v146, 0x2de8, v17
	v_add_f16_e32 v38, v53, v38
	v_sub_f16_e32 v53, v147, v64
	v_sub_f16_e32 v64, v157, v73
	v_add_f16_e32 v57, v60, v57
	v_add_f16_e32 v60, v97, v66
	;; [unrolled: 1-line block ×3, first 2 shown]
	v_mul_f16_e32 v143, 0xbbdd, v23
	v_add_f16_e32 v38, v53, v38
	v_add_f16_e32 v53, v64, v6
	v_sub_f16_e32 v64, v138, v74
	v_add_f16_e32 v57, v60, v57
	v_add_f16_e32 v60, v101, v92
	;; [unrolled: 1-line block ×3, first 2 shown]
	v_alignbit_b32 v100, v6, v6, 16
	v_mul_f16_e32 v59, 0xb461, v25
	v_add_f16_e32 v53, v64, v53
	v_sub_f16_e32 v64, v143, v80
	v_add_f16_e32 v57, v60, v57
	v_add_f16_sdwa v60, v66, v6 dst_sel:DWORD dst_unused:UNUSED_PAD src0_sel:DWORD src1_sel:WORD_1
	v_add_f16_e32 v66, v69, v146
	v_alignbit_b32 v52, v52, v52, 16
	v_add_f16_e32 v58, v145, v58
	v_mul_f16_e32 v48, 0xbacd, v139
	v_add_f16_e32 v68, v109, v125
	v_add_f16_e32 v53, v64, v53
	v_sub_f16_e32 v59, v59, v84
	v_add_f16_e32 v60, v66, v60
	v_add_f16_e32 v64, v77, v128
	v_pk_add_f16 v7, v7, v100 op_sel:[0,1] op_sel_hi:[1,0]
	v_add_f16_e32 v56, v58, v56
	v_mul_f16_e32 v58, 0x39e9, v29
	v_add_f16_e32 v57, v68, v57
	v_add_f16_e32 v53, v59, v53
	;; [unrolled: 1-line block ×5, first 2 shown]
	v_pk_add_f16 v7, v52, v7
	v_mul_f16_e32 v149, 0x3b76, v31
	v_sub_f16_e32 v58, v58, v90
	v_add_f16_e32 v48, v48, v57
	v_add_f16_e32 v57, v60, v59
	;; [unrolled: 1-line block ×3, first 2 shown]
	v_pk_add_f16 v7, v13, v7
	v_mul_f16_e32 v162, 0x3b76, v12
	v_add_f16_e32 v53, v58, v53
	v_sub_f16_e32 v58, v149, v88
	v_add_f16_e32 v13, v52, v57
	v_add_f16_e32 v52, v86, v70
	v_pk_add_f16 v7, v14, v7
	v_mul_f16_e32 v113, 0x3722, v23
	v_add_f16_e32 v53, v58, v53
	v_sub_f16_e32 v58, v162, v61
	v_add_f16_e32 v13, v52, v13
	v_add_f16_e32 v52, v94, v72
	v_pk_add_f16 v7, v15, v7
	v_sub_f16_e32 v57, v150, v62
	v_add_f16_e32 v6, v58, v6
	v_mul_f16_e32 v134, 0x2de8, v25
	v_add_f16_e32 v13, v52, v13
	v_bfi_b32 v52, 0xffff, v116, v106
	v_pk_add_f16 v7, v10, v7
	v_add_f16_e32 v6, v57, v6
	v_sub_f16_e32 v15, v113, v67
	v_bfi_b32 v57, 0xffff, v117, v104
	v_mul_f16_e32 v145, 0xb461, v29
	v_pk_add_f16 v7, v11, v7
	v_pk_add_f16 v11, v52, v100
	v_mul_f16_e32 v105, 0x3b76, v139
	v_add_f16_e32 v6, v15, v6
	v_sub_f16_e32 v10, v134, v71
	v_bfi_b32 v52, 0xffff, v111, v103
	v_pk_add_f16 v7, v8, v7
	v_pk_add_f16 v8, v57, v11
	v_mul_f16_e32 v153, 0xb8d2, v31
	v_add_f16_e32 v15, v96, v105
	v_add_f16_e32 v6, v10, v6
	v_sub_f16_e32 v10, v145, v76
	v_bfi_b32 v11, 0xffff, v118, v107
	v_pk_add_f16 v7, v9, v7
	v_pk_add_f16 v8, v52, v8
	v_add_f16_e32 v9, v15, v13
	v_add_f16_e32 v6, v10, v6
	v_sub_f16_e32 v10, v153, v81
	v_bfi_b32 v13, 0xffff, v115, v108
	v_pk_add_f16 v4, v4, v7
	v_pk_add_f16 v7, v11, v8
	v_add_f16_e32 v56, v63, v56
	v_mul_f16_e32 v63, 0xbacd, v35
	v_add_f16_e32 v6, v10, v6
	v_bfi_b32 v10, 0xffff, v120, v110
	v_pk_add_f16 v4, v5, v4
	v_pk_add_f16 v5, v13, v7
	v_mul_f16_e32 v148, 0xbbdd, v37
	v_sub_f16_e32 v8, v63, v85
	v_bfi_b32 v11, 0xffff, v123, v121
	v_pk_add_f16 v2, v2, v4
	v_pk_add_f16 v4, v10, v5
	v_pk_mul_f16 v5, 0xbbdd, v12 op_sel_hi:[0,1]
	v_add_f16_e32 v6, v8, v6
	v_sub_f16_e32 v7, v148, v89
	v_bfi_b32 v8, 0xffff, v124, v122
	v_pk_add_f16 v2, v3, v2
	v_pk_add_f16 v3, v11, v4
	v_pk_fma_f16 v4, 0xb1e1, v18, v5 op_sel:[0,0,1] op_sel_hi:[0,1,0] neg_lo:[0,1,0] neg_hi:[0,1,0]
	v_pk_mul_f16 v10, 0x35c8, v19 op_sel_hi:[0,1]
	v_add_f16_e32 v6, v7, v6
	v_and_b32_e32 v7, 0xffff, v47
	v_pk_add_f16 v0, v0, v2
	v_pk_add_f16 v2, v8, v3
	;; [unrolled: 1-line block ×3, first 2 shown]
	v_pk_fma_f16 v4, 0x3b76, v17, v10 op_sel_hi:[0,1,1] neg_lo:[0,0,1] neg_hi:[0,0,1]
	v_pk_mul_f16 v8, 0xbacd, v23 op_sel_hi:[0,1]
	v_mul_f16_e32 v98, 0x2de8, v35
	v_add_lshl_u32 v7, v45, v7, 2
	v_pk_add_f16 v0, v1, v0
	v_alignbit_b32 v1, v9, v2, 16
	v_pack_b32_f16 v2, v6, v2
	v_pk_add_f16 v3, v4, v3
	v_pk_fma_f16 v4, 0xb836, v26, v8 op_sel:[0,0,1] op_sel_hi:[0,1,0] neg_lo:[0,1,0] neg_hi:[0,1,0]
	v_pk_mul_f16 v6, 0x39e9, v25 op_sel_hi:[0,1]
	v_mul_f16_e32 v127, 0xbacd, v37
	v_sub_f16_e32 v59, v98, v95
	ds_write2_b32 v7, v2, v1 offset0:1 offset1:2
	v_pk_add_f16 v1, v4, v3
	v_pk_fma_f16 v2, 0x3964, v30, v6 op_sel:[0,0,1] op_sel_hi:[0,1,0] neg_lo:[0,1,0] neg_hi:[0,1,0]
	v_pk_mul_f16 v3, 0xb8d2, v29 op_sel_hi:[0,1]
	v_add_f16_e32 v14, v59, v53
	v_sub_f16_e32 v53, v127, v99
	v_pk_fma_f16 v5, 0xb1e1, v18, v5 op_sel:[0,0,1] op_sel_hi:[0,1,0]
	v_pk_add_f16 v1, v2, v1
	v_pk_fma_f16 v2, 0xba62, v32, v3 op_sel:[0,0,1] op_sel_hi:[0,1,0] neg_lo:[0,1,0] neg_hi:[0,1,0]
	v_pk_mul_f16 v11, 0x3722, v31 op_sel_hi:[0,1]
	v_add_f16_e32 v9, v53, v14
	v_pk_add_f16 v5, v5, v100
	v_pk_fma_f16 v10, 0x3b76, v17, v10 op_sel_hi:[0,1,1]
	v_pk_add_f16 v1, v2, v1
	v_pk_fma_f16 v2, 0x3b29, v33, v11 op_sel:[0,0,1] op_sel_hi:[0,1,0] neg_lo:[0,1,0] neg_hi:[0,1,0]
	v_pk_mul_f16 v14, 0xb461, v35 op_sel_hi:[0,1]
	v_pk_mul_f16 v15, 0xb836, v18 op_sel_hi:[0,1]
	v_pk_add_f16 v5, v10, v5
	v_pk_fma_f16 v8, 0xb836, v26, v8 op_sel:[0,0,1] op_sel_hi:[0,1,0]
	v_pk_add_f16 v1, v2, v1
	v_pk_fma_f16 v2, 0xbbb2, v34, v14 op_sel:[0,0,1] op_sel_hi:[0,1,0] neg_lo:[0,1,0] neg_hi:[0,1,0]
	v_pk_fma_f16 v10, 0xbacd, v12, v15 op_sel:[0,0,1] op_sel_hi:[0,1,0]
	v_pk_fma_f16 v6, 0x3964, v30, v6 op_sel:[0,0,1] op_sel_hi:[0,1,0]
	v_pk_add_f16 v5, v8, v5
	v_pk_mul_f16 v8, 0x3b29, v19 op_sel_hi:[0,1]
	v_pk_add_f16 v1, v2, v1
	v_alignbit_b32 v2, s0, v10, 16
	v_pk_mul_f16 v18, 0xbbf7, v26 op_sel_hi:[0,1]
	v_pk_add_f16 v5, v6, v5
	v_pk_fma_f16 v3, 0xba62, v32, v3 op_sel:[0,0,1] op_sel_hi:[0,1,0]
	v_pk_fma_f16 v6, 0x3722, v17, v8 op_sel_hi:[0,1,1]
	v_pk_add_f16 v2, v2, v100
	v_pk_fma_f16 v19, 0x2de8, v23, v18 op_sel:[0,0,1] op_sel_hi:[0,1,0]
	v_pk_mul_f16 v30, 0x3a62, v30 op_sel_hi:[0,1]
	v_pk_add_f16 v3, v3, v5
	v_pk_fma_f16 v5, 0x3b29, v33, v11 op_sel:[0,0,1] op_sel_hi:[0,1,0]
	v_pk_add_f16 v2, v6, v2
	v_alignbit_b32 v11, s0, v19, 16
	v_pk_fma_f16 v12, 0xbacd, v12, v15 op_sel:[0,0,1] op_sel_hi:[0,1,0] neg_lo:[0,0,1] neg_hi:[0,0,1]
	v_alignbit_b32 v15, s0, v100, 16
	v_pk_add_f16 v3, v5, v3
	v_pk_fma_f16 v5, 0xbbb2, v34, v14 op_sel:[0,0,1] op_sel_hi:[0,1,0]
	v_pk_add_f16 v2, v11, v2
	v_pk_fma_f16 v11, 0xb8d2, v25, v30 op_sel:[0,0,1] op_sel_hi:[0,1,0]
	v_pk_mul_f16 v14, 0xb5c8, v32 op_sel_hi:[0,1]
	v_pk_fma_f16 v8, 0x3722, v17, v8 op_sel_hi:[0,1,1] neg_lo:[0,0,1] neg_hi:[0,0,1]
	v_pack_b32_f16 v9, v9, v48
	v_pk_mul_f16 v33, 0xb1e1, v33 op_sel_hi:[0,1]
	v_alignbit_b32 v17, s0, v11, 16
	v_pk_fma_f16 v32, 0x3b76, v29, v14 op_sel:[0,0,1] op_sel_hi:[0,1,0]
	v_pk_add_f16 v15, v12, v15
	v_alignbit_b32 v48, s0, v8, 16
	v_bfi_b32 v10, 0xffff, v10, v12
	v_pk_add_f16 v2, v17, v2
	v_alignbit_b32 v17, s0, v32, 16
	v_pk_fma_f16 v12, 0xbbdd, v31, v33 op_sel:[0,0,1] op_sel_hi:[0,1,0]
	v_pk_add_f16 v15, v48, v15
	v_pk_fma_f16 v18, 0x2de8, v23, v18 op_sel:[0,0,1] op_sel_hi:[0,1,0] neg_lo:[0,0,1] neg_hi:[0,0,1]
	v_pk_add_f16 v10, v10, v100 op_sel:[0,1] op_sel_hi:[1,0]
	v_pk_add_f16 v2, v17, v2
	v_alignbit_b32 v6, v8, v6, 16
	v_alignbit_b32 v8, s0, v12, 16
	v_pk_add_f16 v15, v18, v15
	v_pk_fma_f16 v17, 0xb8d2, v25, v30 op_sel:[0,0,1] op_sel_hi:[0,1,0] neg_lo:[0,0,1] neg_hi:[0,0,1]
	v_pk_mul_f16 v23, 0x3964, v34 op_sel_hi:[0,1]
	v_pk_add_f16 v6, v6, v10
	v_bfi_b32 v10, 0xffff, v19, v18
	v_pk_add_f16 v2, v8, v2
	v_pk_add_f16 v8, v17, v15
	v_pk_fma_f16 v14, 0x3b76, v29, v14 op_sel:[0,0,1] op_sel_hi:[0,1,0] neg_lo:[0,0,1] neg_hi:[0,0,1]
	v_mul_f16_e32 v144, 0x39e9, v37
	v_mul_f16_e32 v139, 0x39e9, v139
	v_pk_fma_f16 v15, 0x39e9, v35, v23 op_sel:[0,0,1] op_sel_hi:[0,1,0]
	v_pk_add_f16 v6, v10, v6
	v_bfi_b32 v10, 0xffff, v11, v17
	v_pk_mul_f16 v11, 0xbbb2, v36 op_sel_hi:[0,1]
	v_pk_add_f16 v8, v14, v8
	v_pk_fma_f16 v17, 0xbbdd, v31, v33 op_sel:[0,0,1] op_sel_hi:[0,1,0] neg_lo:[0,0,1] neg_hi:[0,0,1]
	v_add_f16_e32 v75, v140, v139
	v_sub_f16_e32 v65, v144, v65
	v_alignbit_b32 v18, s0, v15, 16
	v_pk_add_f16 v6, v10, v6
	v_bfi_b32 v10, 0xffff, v32, v14
	v_pk_fma_f16 v14, 0xb461, v37, v11 op_sel:[0,0,1] op_sel_hi:[0,1,0]
	v_pk_add_f16 v8, v17, v8
	v_pk_fma_f16 v19, 0x39e9, v35, v23 op_sel:[0,0,1] op_sel_hi:[0,1,0] neg_lo:[0,0,1] neg_hi:[0,0,1]
	v_add_f16_e32 v55, v75, v55
	v_add_f16_e32 v38, v65, v38
	v_pk_mul_f16 v26, 0x2de8, v37 op_sel_hi:[0,1]
	v_pk_add_f16 v2, v18, v2
	v_pk_add_f16 v6, v10, v6
	v_bfi_b32 v10, 0xffff, v12, v17
	v_alignbit_b32 v12, s0, v14, 16
	v_pk_add_f16 v8, v19, v8
	v_pk_fma_f16 v11, 0xb461, v37, v11 op_sel:[0,0,1] op_sel_hi:[0,1,0] neg_lo:[0,0,1] neg_hi:[0,0,1]
	v_pack_b32_f16 v4, v38, v55
	v_pk_fma_f16 v38, 0x3bf7, v36, v26 op_sel:[0,0,1] op_sel_hi:[0,1,0] neg_lo:[0,1,0] neg_hi:[0,1,0]
	v_pk_add_f16 v3, v5, v3
	v_pk_add_f16 v5, v10, v6
	;; [unrolled: 1-line block ×4, first 2 shown]
	v_pk_fma_f16 v10, 0x3bf7, v36, v26 op_sel:[0,0,1] op_sel_hi:[0,1,0]
	v_bfi_b32 v6, 0xffff, v15, v19
	v_pk_add_f16 v0, v16, v0
	v_pk_add_f16 v1, v38, v1
	v_pack_b32_f16 v2, v8, v2
	v_pk_add_f16 v3, v10, v3
	v_pack_b32_f16 v13, v132, v137
	v_pack_b32_f16 v16, v54, v56
	v_pk_add_f16 v5, v6, v5
	v_bfi_b32 v6, 0xffff, v14, v11
	ds_write2_b32 v7, v9, v4 offset0:3 offset1:4
	ds_write2_b32 v7, v16, v13 offset0:5 offset1:6
	ds_write2_b32 v7, v0, v2 offset1:7
	v_alignbit_b32 v0, v1, v3, 16
	v_alignbit_b32 v1, v3, v1, 16
	v_pk_add_f16 v4, v6, v5
	v_perm_b32 v2, v42, v24, 0x5040100
	v_perm_b32 v3, v40, v28, 0x5040100
	;; [unrolled: 1-line block ×6, first 2 shown]
	ds_write2_b32 v7, v1, v0 offset0:8 offset1:9
	ds_write2_b32 v7, v4, v2 offset0:10 offset1:11
	;; [unrolled: 1-line block ×4, first 2 shown]
	ds_write_b32 v7, v9 offset:64
.LBB0_7:
	s_or_b32 exec_lo, exec_lo, s4
	v_and_b32_e32 v0, 0xff, v44
	v_mov_b32_e32 v1, 10
	s_load_dwordx4 s[4:7], s[0:1], 0x0
	s_waitcnt lgkmcnt(0)
	s_barrier
	v_mul_lo_u16 v0, 0xf1, v0
	buffer_gl0_inv
	v_add_lshl_u32 v48, v45, v44, 2
	v_mov_b32_e32 v32, 0xbb
	v_cmp_gt_u16_e64 s0, 17, v44
	v_lshrrev_b16 v19, 12, v0
	v_add_nc_u32_e32 v3, 0x400, v48
	v_add_nc_u32_e32 v12, 0x600, v48
	;; [unrolled: 1-line block ×3, first 2 shown]
	v_mul_lo_u16 v0, v19, 17
	v_mul_u32_u24_sdwa v19, v19, v32 dst_sel:DWORD dst_unused:UNUSED_PAD src0_sel:WORD_0 src1_sel:DWORD
	v_add_nc_u32_e32 v53, 0xa00, v48
	v_sub_nc_u16 v23, v44, v0
	v_mul_u32_u24_sdwa v0, v23, v1 dst_sel:DWORD dst_unused:UNUSED_PAD src0_sel:BYTE_0 src1_sel:DWORD
	v_add_nc_u32_sdwa v19, v19, v23 dst_sel:DWORD dst_unused:UNUSED_PAD src0_sel:DWORD src1_sel:BYTE_0
	v_lshlrev_b32_e32 v0, 2, v0
	v_add_lshl_u32 v52, v45, v19, 2
	s_clause 0x2
	global_load_dwordx4 v[8:11], v0, s[2:3]
	global_load_dwordx4 v[4:7], v0, s[2:3] offset:16
	global_load_dwordx2 v[25:26], v0, s[2:3] offset:32
	ds_read2_b32 v[0:1], v48 offset1:85
	ds_read2_b32 v[13:14], v48 offset0:170 offset1:255
	ds_read_b32 v31, v48 offset:3400
	ds_read2_b32 v[15:16], v3 offset0:84 offset1:169
	ds_read2_b32 v[17:18], v12 offset0:126 offset1:211
	;; [unrolled: 1-line block ×3, first 2 shown]
	v_add_nc_u32_e32 v12, 0x200, v48
	s_waitcnt vmcnt(0) lgkmcnt(0)
	s_barrier
	buffer_gl0_inv
	v_lshrrev_b32_e32 v32, 16, v1
	v_lshrrev_b32_e32 v33, 16, v13
	;; [unrolled: 1-line block ×10, first 2 shown]
	v_mul_f16_sdwa v19, v32, v8 dst_sel:DWORD dst_unused:UNUSED_PAD src0_sel:DWORD src1_sel:WORD_1
	v_mul_f16_sdwa v56, v1, v8 dst_sel:DWORD dst_unused:UNUSED_PAD src0_sel:DWORD src1_sel:WORD_1
	;; [unrolled: 1-line block ×9, first 2 shown]
	v_fma_f16 v1, v1, v8, -v19
	v_fmac_f16_e32 v56, v32, v8
	v_mul_f16_sdwa v59, v34, v10 dst_sel:DWORD dst_unused:UNUSED_PAD src0_sel:DWORD src1_sel:WORD_1
	v_mul_f16_sdwa v60, v14, v10 dst_sel:DWORD dst_unused:UNUSED_PAD src0_sel:DWORD src1_sel:WORD_1
	v_mul_f16_sdwa v61, v23, v11 dst_sel:DWORD dst_unused:UNUSED_PAD src0_sel:DWORD src1_sel:WORD_1
	v_mul_f16_sdwa v63, v36, v4 dst_sel:DWORD dst_unused:UNUSED_PAD src0_sel:DWORD src1_sel:WORD_1
	v_mul_f16_sdwa v64, v16, v4 dst_sel:DWORD dst_unused:UNUSED_PAD src0_sel:DWORD src1_sel:WORD_1
	v_mul_f16_sdwa v65, v37, v5 dst_sel:DWORD dst_unused:UNUSED_PAD src0_sel:DWORD src1_sel:WORD_1
	v_mul_f16_sdwa v66, v17, v5 dst_sel:DWORD dst_unused:UNUSED_PAD src0_sel:DWORD src1_sel:WORD_1
	v_mul_f16_sdwa v67, v38, v6 dst_sel:DWORD dst_unused:UNUSED_PAD src0_sel:DWORD src1_sel:WORD_1
	v_mul_f16_sdwa v68, v18, v6 dst_sel:DWORD dst_unused:UNUSED_PAD src0_sel:DWORD src1_sel:WORD_1
	v_mul_f16_sdwa v70, v29, v7 dst_sel:DWORD dst_unused:UNUSED_PAD src0_sel:DWORD src1_sel:WORD_1
	v_mul_f16_sdwa v72, v30, v25 dst_sel:DWORD dst_unused:UNUSED_PAD src0_sel:DWORD src1_sel:WORD_1
	v_fma_f16 v13, v13, v9, -v57
	v_fmac_f16_e32 v58, v33, v9
	v_fmac_f16_e32 v62, v23, v11
	v_fma_f16 v19, v29, v7, -v69
	v_fma_f16 v29, v30, v25, -v71
	;; [unrolled: 1-line block ×3, first 2 shown]
	v_fmac_f16_e32 v74, v35, v26
	v_add_f16_e32 v23, v0, v1
	v_add_f16_sdwa v31, v0, v56 dst_sel:DWORD dst_unused:UNUSED_PAD src0_sel:WORD_1 src1_sel:DWORD
	v_fma_f16 v14, v14, v10, -v59
	v_fmac_f16_e32 v60, v34, v10
	v_fma_f16 v15, v15, v11, -v61
	v_fma_f16 v16, v16, v4, -v63
	v_fmac_f16_e32 v64, v36, v4
	v_fma_f16 v17, v17, v5, -v65
	v_fmac_f16_e32 v66, v37, v5
	;; [unrolled: 2-line block ×3, first 2 shown]
	v_fmac_f16_e32 v70, v54, v7
	v_fmac_f16_e32 v72, v55, v25
	v_add_f16_e32 v32, v1, v30
	v_sub_f16_e32 v1, v1, v30
	v_sub_f16_e32 v34, v56, v74
	v_add_f16_e32 v35, v13, v29
	v_sub_f16_e32 v37, v13, v29
	v_add_f16_e32 v13, v23, v13
	v_add_f16_e32 v23, v31, v58
	v_add_f16_e32 v33, v56, v74
	v_add_f16_e32 v36, v58, v72
	v_sub_f16_e32 v38, v58, v72
	v_add_f16_e32 v54, v14, v19
	v_sub_f16_e32 v56, v14, v19
	v_sub_f16_e32 v57, v60, v70
	;; [unrolled: 1-line block ×6, first 2 shown]
	v_mul_f16_e32 v31, 0xb853, v34
	v_mul_f16_e32 v58, 0xb853, v1
	;; [unrolled: 1-line block ×10, first 2 shown]
	v_add_f16_e32 v13, v13, v14
	v_add_f16_e32 v14, v23, v60
	;; [unrolled: 1-line block ×7, first 2 shown]
	v_mul_f16_e32 v81, 0xbb47, v38
	v_mul_f16_e32 v82, 0xbb47, v37
	;; [unrolled: 1-line block ×40, first 2 shown]
	v_fma_f16 v23, v32, 0x3abb, -v31
	v_fmamk_f16 v60, v33, 0x3abb, v58
	v_fmac_f16_e32 v31, 0x3abb, v32
	v_fma_f16 v58, v33, 0x3abb, -v58
	v_fma_f16 v113, v32, 0x36a6, -v75
	v_fmamk_f16 v114, v33, 0x36a6, v76
	v_fmac_f16_e32 v75, 0x36a6, v32
	v_fma_f16 v76, v33, 0x36a6, -v76
	;; [unrolled: 4-line block ×5, first 2 shown]
	v_add_f16_e32 v13, v13, v15
	v_add_f16_e32 v14, v14, v62
	v_fma_f16 v32, v35, 0x36a6, -v81
	v_fmamk_f16 v33, v36, 0x36a6, v82
	v_fmac_f16_e32 v81, 0x36a6, v35
	v_fma_f16 v82, v36, 0x36a6, -v82
	v_fma_f16 v121, v35, 0xb93d, -v83
	v_fmamk_f16 v122, v36, 0xb93d, v84
	v_fmac_f16_e32 v83, 0xb93d, v35
	v_fma_f16 v84, v36, 0xb93d, -v84
	;; [unrolled: 4-line block ×20, first 2 shown]
	v_add_f16_e32 v15, v0, v23
	v_add_f16_sdwa v23, v0, v60 dst_sel:DWORD dst_unused:UNUSED_PAD src0_sel:WORD_1 src1_sel:DWORD
	v_add_f16_e32 v31, v0, v31
	v_add_f16_sdwa v58, v0, v58 dst_sel:DWORD dst_unused:UNUSED_PAD src0_sel:WORD_1 src1_sel:DWORD
	;; [unrolled: 2-line block ×10, first 2 shown]
	v_add_f16_e32 v1, v13, v16
	v_add_f16_e32 v13, v14, v64
	;; [unrolled: 1-line block ×92, first 2 shown]
	v_pack_b32_f16 v14, v14, v15
	v_pack_b32_f16 v15, v16, v17
	;; [unrolled: 1-line block ×11, first 2 shown]
	ds_write2_b32 v52, v15, v16 offset0:34 offset1:51
	ds_write2_b32 v52, v17, v29 offset0:68 offset1:85
	;; [unrolled: 1-line block ×4, first 2 shown]
	ds_write_b32 v52, v19 offset:680
	ds_write2_b32 v52, v1, v14 offset1:17
	s_waitcnt lgkmcnt(0)
	s_barrier
	buffer_gl0_inv
	ds_read2_b32 v[29:30], v48 offset1:85
	ds_read2_b32 v[37:38], v12 offset0:59 offset1:144
	ds_read2_b32 v[35:36], v3 offset0:118 offset1:203
	;; [unrolled: 1-line block ×4, first 2 shown]
	s_and_saveexec_b32 s1, s0
	s_cbranch_execz .LBB0_9
; %bb.8:
	ds_read2_b32 v[23:24], v12 offset0:42 offset1:229
	ds_read2_b32 v[27:28], v2 offset0:32 offset1:219
	ds_read_b32 v21, v48 offset:3672
	s_waitcnt lgkmcnt(2)
	v_lshrrev_b32_e32 v55, 16, v23
	v_lshrrev_b32_e32 v42, 16, v24
	s_waitcnt lgkmcnt(1)
	v_lshrrev_b32_e32 v41, 16, v27
	v_lshrrev_b32_e32 v40, 16, v28
	s_waitcnt lgkmcnt(0)
	v_lshrrev_b32_e32 v39, 16, v21
.LBB0_9:
	s_or_b32 exec_lo, exec_lo, s1
	v_lshlrev_b32_e32 v0, 4, v44
	s_waitcnt lgkmcnt(3)
	v_lshrrev_b32_e32 v56, 16, v37
	s_waitcnt lgkmcnt(2)
	v_lshrrev_b32_e32 v57, 16, v35
	;; [unrolled: 2-line block ×4, first 2 shown]
	global_load_dwordx4 v[16:19], v0, s[2:3] offset:680
	v_add_nc_u32_e32 v0, 0x550, v0
	v_lshrrev_b32_e32 v62, 16, v38
	v_lshrrev_b32_e32 v63, 16, v36
	;; [unrolled: 1-line block ×4, first 2 shown]
	global_load_dwordx4 v[12:15], v0, s[2:3] offset:680
	v_add_co_u32 v0, s1, 0xaa, v44
	v_add_co_ci_u32_e64 v1, null, 0, 0, s1
	v_add_co_u32 v2, s1, 0xffffffef, v44
	v_add_co_ci_u32_e64 v3, null, 0, -1, s1
	v_lshrrev_b32_e32 v65, 16, v32
	v_cndmask_b32_e64 v0, v2, v0, s0
	v_lshrrev_b32_e32 v60, 16, v30
	v_cndmask_b32_e64 v1, v3, v1, s0
	v_lshl_add_u32 v53, v44, 2, v46
	v_add_nc_u32_e32 v54, v43, v46
	v_lshlrev_b64 v[0:1], 4, v[0:1]
	v_add_nc_u32_e32 v74, 0x200, v53
	v_add_nc_u32_e32 v75, 0x800, v53
	;; [unrolled: 1-line block ×4, first 2 shown]
	v_add_co_u32 v0, s1, s2, v0
	v_add_co_ci_u32_e64 v1, s1, s3, v1, s1
	global_load_dwordx4 v[0:3], v[0:1], off offset:680
	s_waitcnt vmcnt(2)
	v_mul_f16_sdwa v66, v56, v16 dst_sel:DWORD dst_unused:UNUSED_PAD src0_sel:DWORD src1_sel:WORD_1
	v_mul_f16_sdwa v67, v37, v16 dst_sel:DWORD dst_unused:UNUSED_PAD src0_sel:DWORD src1_sel:WORD_1
	;; [unrolled: 1-line block ×8, first 2 shown]
	v_fma_f16 v37, v37, v16, -v66
	v_fmac_f16_e32 v67, v56, v16
	v_fma_f16 v35, v35, v17, -v68
	v_fma_f16 v56, v33, v18, -v70
	v_fmac_f16_e32 v71, v58, v18
	v_fma_f16 v31, v31, v19, -v72
	v_fmac_f16_e32 v73, v59, v19
	s_waitcnt vmcnt(1)
	v_mul_f16_sdwa v33, v62, v12 dst_sel:DWORD dst_unused:UNUSED_PAD src0_sel:DWORD src1_sel:WORD_1
	v_mul_f16_sdwa v58, v63, v13 dst_sel:DWORD dst_unused:UNUSED_PAD src0_sel:DWORD src1_sel:WORD_1
	;; [unrolled: 1-line block ×4, first 2 shown]
	v_fmac_f16_e32 v69, v57, v17
	v_mul_f16_sdwa v57, v38, v12 dst_sel:DWORD dst_unused:UNUSED_PAD src0_sel:DWORD src1_sel:WORD_1
	v_mul_f16_sdwa v66, v64, v14 dst_sel:DWORD dst_unused:UNUSED_PAD src0_sel:DWORD src1_sel:WORD_1
	;; [unrolled: 1-line block ×4, first 2 shown]
	v_fma_f16 v38, v38, v12, -v33
	v_fma_f16 v58, v36, v13, -v58
	v_fmac_f16_e32 v59, v63, v13
	v_fmac_f16_e32 v68, v64, v14
	v_add_f16_e32 v33, v35, v56
	v_sub_f16_e32 v36, v37, v35
	v_sub_f16_e32 v63, v31, v56
	v_add_f16_e32 v64, v37, v31
	v_add_f16_e32 v79, v61, v67
	v_fmac_f16_e32 v57, v62, v12
	v_fma_f16 v34, v34, v14, -v66
	v_fma_f16 v66, v32, v15, -v70
	v_fmac_f16_e32 v72, v65, v15
	v_add_f16_e32 v32, v29, v37
	v_sub_f16_e32 v70, v69, v71
	v_add_f16_e32 v80, v69, v71
	v_sub_f16_e32 v82, v67, v69
	v_sub_f16_e32 v83, v73, v71
	v_add_f16_e32 v84, v67, v73
	v_fma_f16 v33, -0.5, v33, v29
	v_add_f16_e32 v86, v36, v63
	v_fma_f16 v36, -0.5, v64, v29
	v_add_f16_e32 v29, v79, v69
	v_add_f16_e32 v64, v30, v38
	s_waitcnt vmcnt(0)
	v_mul_f16_sdwa v97, v42, v0 dst_sel:DWORD dst_unused:UNUSED_PAD src0_sel:DWORD src1_sel:WORD_1
	v_mul_f16_sdwa v98, v24, v0 dst_sel:DWORD dst_unused:UNUSED_PAD src0_sel:DWORD src1_sel:WORD_1
	;; [unrolled: 1-line block ×8, first 2 shown]
	v_sub_f16_e32 v62, v67, v73
	v_sub_f16_e32 v65, v35, v37
	;; [unrolled: 1-line block ×6, first 2 shown]
	v_add_f16_e32 v32, v32, v35
	v_fma_f16 v63, -0.5, v80, v61
	v_add_f16_e32 v79, v82, v83
	v_fmac_f16_e32 v61, -0.5, v84
	v_add_f16_e32 v69, v58, v34
	v_sub_f16_e32 v82, v57, v72
	v_sub_f16_e32 v84, v38, v58
	v_add_f16_e32 v87, v38, v66
	v_sub_f16_e32 v88, v58, v38
	v_add_f16_e32 v90, v60, v57
	v_sub_f16_e32 v92, v38, v66
	v_sub_f16_e32 v93, v58, v34
	;; [unrolled: 1-line block ×3, first 2 shown]
	v_add_f16_e32 v95, v57, v72
	v_sub_f16_e32 v57, v59, v57
	v_sub_f16_e32 v96, v68, v72
	v_fmamk_f16 v35, v70, 0xbb9c, v36
	v_fmac_f16_e32 v36, 0x3b9c, v70
	v_add_f16_e32 v71, v29, v71
	v_add_f16_e32 v58, v64, v58
	v_fma_f16 v24, v24, v0, -v97
	v_fmac_f16_e32 v98, v42, v0
	v_fma_f16 v27, v27, v1, -v99
	v_fmac_f16_e32 v100, v41, v1
	;; [unrolled: 2-line block ×4, first 2 shown]
	v_sub_f16_e32 v78, v56, v31
	v_add_f16_e32 v91, v59, v68
	v_add_f16_e32 v80, v67, v85
	v_sub_f16_e32 v83, v59, v68
	v_sub_f16_e32 v85, v66, v34
	;; [unrolled: 1-line block ×3, first 2 shown]
	v_add_f16_e32 v56, v32, v56
	v_fmamk_f16 v32, v62, 0x3b9c, v33
	v_fmac_f16_e32 v33, 0xbb9c, v62
	v_fmamk_f16 v67, v37, 0xbb9c, v63
	v_fmac_f16_e32 v63, 0x3b9c, v37
	v_add_f16_e32 v59, v90, v59
	v_add_f16_e32 v57, v57, v96
	v_fmac_f16_e32 v35, 0x38b4, v62
	v_fmac_f16_e32 v36, 0xb8b4, v62
	v_add_f16_e32 v62, v71, v73
	v_add_f16_e32 v21, v58, v34
	;; [unrolled: 1-line block ×7, first 2 shown]
	v_sub_f16_e32 v94, v72, v68
	v_fmamk_f16 v65, v81, 0x3b9c, v61
	v_fmac_f16_e32 v61, 0xbb9c, v81
	v_fma_f16 v29, -0.5, v69, v30
	v_fmac_f16_e32 v30, -0.5, v87
	v_fma_f16 v64, -0.5, v91, v60
	v_fmac_f16_e32 v60, -0.5, v95
	v_add_f16_e32 v84, v84, v85
	v_add_f16_e32 v85, v88, v89
	;; [unrolled: 1-line block ×3, first 2 shown]
	v_fmac_f16_e32 v32, 0x38b4, v70
	v_fmac_f16_e32 v33, 0xb8b4, v70
	;; [unrolled: 1-line block ×4, first 2 shown]
	v_add_f16_e32 v39, v59, v68
	v_add_f16_e32 v41, v23, v24
	v_sub_f16_e32 v56, v98, v104
	v_sub_f16_e32 v58, v100, v102
	;; [unrolled: 1-line block ×5, first 2 shown]
	v_add_f16_e32 v89, v55, v98
	v_sub_f16_e32 v24, v24, v40
	v_sub_f16_e32 v91, v27, v28
	v_add_f16_e32 v34, v21, v66
	v_fma_f16 v21, -0.5, v42, v23
	v_fmac_f16_e32 v23, -0.5, v71
	v_fma_f16 v66, -0.5, v90, v55
	v_fmac_f16_e32 v55, -0.5, v96
	v_add_f16_e32 v87, v38, v94
	v_fmac_f16_e32 v65, 0xb8b4, v37
	v_fmac_f16_e32 v61, 0x38b4, v37
	v_fmamk_f16 v37, v82, 0x3b9c, v29
	v_fmamk_f16 v38, v83, 0xbb9c, v30
	;; [unrolled: 1-line block ×4, first 2 shown]
	v_fmac_f16_e32 v29, 0xbb9c, v82
	v_fmac_f16_e32 v30, 0x3b9c, v83
	;; [unrolled: 1-line block ×4, first 2 shown]
	v_sub_f16_e32 v88, v28, v40
	v_sub_f16_e32 v94, v98, v100
	;; [unrolled: 1-line block ×5, first 2 shown]
	v_add_f16_e32 v73, v39, v72
	v_add_f16_e32 v27, v41, v27
	;; [unrolled: 1-line block ×4, first 2 shown]
	v_fmamk_f16 v42, v56, 0x3b9c, v21
	v_fmac_f16_e32 v21, 0xbb9c, v56
	v_fmamk_f16 v39, v58, 0xbb9c, v23
	v_fmac_f16_e32 v23, 0x3b9c, v58
	;; [unrolled: 2-line block ×4, first 2 shown]
	v_fmac_f16_e32 v37, 0x38b4, v83
	v_fmac_f16_e32 v38, 0x38b4, v82
	v_fmac_f16_e32 v69, 0xb8b4, v93
	v_fmac_f16_e32 v68, 0xb8b4, v92
	v_fmac_f16_e32 v29, 0xb8b4, v83
	v_fmac_f16_e32 v30, 0xb8b4, v82
	v_fmac_f16_e32 v64, 0x38b4, v93
	v_fmac_f16_e32 v60, 0x38b4, v92
	v_fmac_f16_e32 v32, 0x34f2, v86
	v_fmac_f16_e32 v35, 0x34f2, v78
	v_fmac_f16_e32 v67, 0x34f2, v79
	v_fmac_f16_e32 v63, 0x34f2, v79
	v_fmac_f16_e32 v65, 0x34f2, v80
	v_fmac_f16_e32 v61, 0x34f2, v80
	v_add_f16_e32 v79, v81, v88
	v_add_f16_e32 v80, v94, v95
	;; [unrolled: 1-line block ×5, first 2 shown]
	v_fmac_f16_e32 v42, 0x38b4, v58
	v_fmac_f16_e32 v21, 0xb8b4, v58
	;; [unrolled: 1-line block ×18, first 2 shown]
	v_pack_b32_f16 v57, v32, v67
	v_pack_b32_f16 v82, v35, v65
	v_add_f16_e32 v41, v27, v40
	v_add_f16_e32 v72, v28, v104
	v_fmac_f16_e32 v42, 0x34f2, v59
	v_fmac_f16_e32 v21, 0x34f2, v59
	;; [unrolled: 1-line block ×8, first 2 shown]
	v_pack_b32_f16 v83, v36, v61
	v_pack_b32_f16 v84, v33, v63
	;; [unrolled: 1-line block ×8, first 2 shown]
	ds_write2_b32 v74, v57, v82 offset0:59 offset1:246
	ds_write2_b32 v75, v83, v84 offset0:49 offset1:236
	ds_write2_b32 v53, v78, v85 offset1:85
	ds_write2_b32 v76, v86, v87 offset0:16 offset1:203
	ds_write2_b32 v77, v88, v89 offset0:6 offset1:193
	s_and_saveexec_b32 s1, s0
	s_cbranch_execz .LBB0_11
; %bb.10:
	v_perm_b32 v24, v72, v41, 0x5040100
	v_perm_b32 v27, v71, v42, 0x5040100
	v_add_nc_u32_e32 v28, 0x200, v53
	v_perm_b32 v40, v70, v39, 0x5040100
	v_perm_b32 v56, v55, v23, 0x5040100
	v_add_nc_u32_e32 v57, 0x800, v53
	v_perm_b32 v58, v66, v21, 0x5040100
	ds_write2_b32 v28, v24, v27 offset0:42 offset1:229
	ds_write2_b32 v57, v40, v56 offset0:32 offset1:219
	ds_write_b32 v53, v58 offset:3672
.LBB0_11:
	s_or_b32 exec_lo, exec_lo, s1
	s_waitcnt lgkmcnt(0)
	s_barrier
	buffer_gl0_inv
	s_and_saveexec_b32 s2, vcc_lo
	s_cbranch_execz .LBB0_13
; %bb.12:
	v_add_co_u32 v24, s1, s8, v43
	v_add_co_ci_u32_e64 v40, null, s9, 0, s1
	v_add_nc_u32_e32 v99, 0x200, v53
	v_add_co_u32 v27, s1, 0x800, v24
	v_add_co_ci_u32_e64 v28, s1, 0, v40, s1
	v_add_co_u32 v56, s1, 0xe9c, v24
	v_add_co_ci_u32_e64 v57, s1, 0, v40, s1
	v_add_nc_u32_e32 v100, 0x400, v53
	s_clause 0x2
	global_load_dword v84, v[27:28], off offset:1692
	global_load_dword v85, v[56:57], off offset:220
	;; [unrolled: 1-line block ×3, first 2 shown]
	v_add_co_u32 v27, s1, 0x1000, v24
	v_add_co_ci_u32_e64 v28, s1, 0, v40, s1
	v_add_co_u32 v58, s1, 0x1800, v24
	v_add_co_ci_u32_e64 v59, s1, 0, v40, s1
	s_clause 0xd
	global_load_dword v24, v[56:57], off offset:660
	global_load_dword v40, v[56:57], off offset:880
	;; [unrolled: 1-line block ×14, first 2 shown]
	ds_read2_b32 v[27:28], v53 offset1:55
	v_add_nc_u32_e32 v102, 0x800, v53
	ds_read2_b32 v[56:57], v53 offset0:110 offset1:165
	ds_read_b32 v101, v53 offset:3520
	ds_read2_b32 v[58:59], v99 offset0:92 offset1:147
	v_add_nc_u32_e32 v103, 0xc00, v53
	ds_read2_b32 v[74:75], v100 offset0:74 offset1:129
	ds_read2_b32 v[76:77], v100 offset0:184 offset1:239
	;; [unrolled: 1-line block ×5, first 2 shown]
	s_waitcnt lgkmcnt(8)
	v_lshrrev_b32_e32 v104, 16, v27
	v_lshrrev_b32_e32 v105, 16, v28
	s_waitcnt lgkmcnt(7)
	v_lshrrev_b32_e32 v106, 16, v56
	v_lshrrev_b32_e32 v107, 16, v57
	;; [unrolled: 3-line block ×5, first 2 shown]
	v_lshrrev_b32_e32 v108, 16, v101
	s_waitcnt lgkmcnt(2)
	v_lshrrev_b32_e32 v115, 16, v78
	v_lshrrev_b32_e32 v116, 16, v79
	s_waitcnt lgkmcnt(1)
	v_lshrrev_b32_e32 v117, 16, v80
	v_lshrrev_b32_e32 v118, 16, v81
	s_waitcnt lgkmcnt(0)
	v_lshrrev_b32_e32 v119, 16, v82
	v_lshrrev_b32_e32 v120, 16, v83
	s_waitcnt vmcnt(13)
	v_mul_f16_sdwa v127, v107, v24 dst_sel:DWORD dst_unused:UNUSED_PAD src0_sel:DWORD src1_sel:WORD_1
	v_mul_f16_sdwa v128, v57, v24 dst_sel:DWORD dst_unused:UNUSED_PAD src0_sel:DWORD src1_sel:WORD_1
	v_mul_f16_sdwa v121, v104, v84 dst_sel:DWORD dst_unused:UNUSED_PAD src0_sel:DWORD src1_sel:WORD_1
	v_mul_f16_sdwa v122, v27, v84 dst_sel:DWORD dst_unused:UNUSED_PAD src0_sel:DWORD src1_sel:WORD_1
	v_mul_f16_sdwa v123, v105, v85 dst_sel:DWORD dst_unused:UNUSED_PAD src0_sel:DWORD src1_sel:WORD_1
	v_mul_f16_sdwa v124, v28, v85 dst_sel:DWORD dst_unused:UNUSED_PAD src0_sel:DWORD src1_sel:WORD_1
	v_mul_f16_sdwa v125, v106, v86 dst_sel:DWORD dst_unused:UNUSED_PAD src0_sel:DWORD src1_sel:WORD_1
	v_mul_f16_sdwa v126, v56, v86 dst_sel:DWORD dst_unused:UNUSED_PAD src0_sel:DWORD src1_sel:WORD_1
	s_waitcnt vmcnt(12)
	v_mul_f16_sdwa v129, v109, v40 dst_sel:DWORD dst_unused:UNUSED_PAD src0_sel:DWORD src1_sel:WORD_1
	v_mul_f16_sdwa v130, v58, v40 dst_sel:DWORD dst_unused:UNUSED_PAD src0_sel:DWORD src1_sel:WORD_1
	s_waitcnt vmcnt(11)
	v_mul_f16_sdwa v131, v110, v87 dst_sel:DWORD dst_unused:UNUSED_PAD src0_sel:DWORD src1_sel:WORD_1
	v_mul_f16_sdwa v132, v59, v87 dst_sel:DWORD dst_unused:UNUSED_PAD src0_sel:DWORD src1_sel:WORD_1
	;; [unrolled: 3-line block ×6, first 2 shown]
	v_mul_f16_sdwa v141, v115, v91 dst_sel:DWORD dst_unused:UNUSED_PAD src0_sel:DWORD src1_sel:WORD_1
	v_mul_f16_sdwa v142, v78, v91 dst_sel:DWORD dst_unused:UNUSED_PAD src0_sel:DWORD src1_sel:WORD_1
	;; [unrolled: 1-line block ×12, first 2 shown]
	s_waitcnt vmcnt(0)
	v_mul_f16_sdwa v153, v108, v98 dst_sel:DWORD dst_unused:UNUSED_PAD src0_sel:DWORD src1_sel:WORD_1
	v_mul_f16_sdwa v154, v101, v98 dst_sel:DWORD dst_unused:UNUSED_PAD src0_sel:DWORD src1_sel:WORD_1
	v_fma_f16 v27, v27, v84, -v121
	v_fmac_f16_e32 v122, v104, v84
	v_fma_f16 v28, v28, v85, -v123
	v_fmac_f16_e32 v124, v105, v85
	;; [unrolled: 2-line block ×17, first 2 shown]
	v_pack_b32_f16 v27, v27, v122
	v_pack_b32_f16 v28, v28, v124
	;; [unrolled: 1-line block ×17, first 2 shown]
	ds_write2_b32 v53, v27, v28 offset1:55
	ds_write2_b32 v53, v56, v57 offset0:110 offset1:165
	ds_write2_b32 v99, v24, v40 offset0:92 offset1:147
	;; [unrolled: 1-line block ×7, first 2 shown]
	ds_write_b32 v53, v82 offset:3520
.LBB0_13:
	s_or_b32 exec_lo, exec_lo, s2
	s_waitcnt lgkmcnt(0)
	s_barrier
	buffer_gl0_inv
	s_and_saveexec_b32 s1, vcc_lo
	s_cbranch_execz .LBB0_15
; %bb.14:
	v_add_nc_u32_e32 v21, 0x200, v53
	v_add_nc_u32_e32 v22, 0x400, v53
	ds_read2_b32 v[31:32], v53 offset1:55
	ds_read2_b32 v[35:36], v53 offset0:110 offset1:165
	ds_read2_b32 v[33:34], v21 offset0:92 offset1:147
	v_add_nc_u32_e32 v21, 0x800, v53
	ds_read2_b32 v[37:38], v22 offset0:74 offset1:129
	ds_read2_b32 v[28:29], v22 offset0:184 offset1:239
	v_add_nc_u32_e32 v22, 0xc00, v53
	ds_read2_b32 v[41:42], v21 offset0:38 offset1:93
	ds_read2_b32 v[39:40], v21 offset0:148 offset1:203
	ds_read2_b32 v[21:22], v22 offset0:2 offset1:57
	ds_read_b32 v49, v53 offset:3520
	s_waitcnt lgkmcnt(8)
	v_lshrrev_b32_e32 v62, 16, v31
	v_lshrrev_b32_e32 v67, 16, v32
	s_waitcnt lgkmcnt(7)
	v_lshrrev_b32_e32 v65, 16, v35
	v_lshrrev_b32_e32 v61, 16, v36
	s_waitcnt lgkmcnt(6)
	v_lshrrev_b32_e32 v63, 16, v33
	v_lshrrev_b32_e32 v73, 16, v34
	s_waitcnt lgkmcnt(5)
	v_lshrrev_b32_e32 v69, 16, v37
	v_lshrrev_b32_e32 v68, 16, v38
	s_waitcnt lgkmcnt(4)
	v_lshrrev_b32_e32 v60, 16, v28
	v_lshrrev_b32_e32 v64, 16, v29
	s_waitcnt lgkmcnt(3)
	v_lshrrev_b32_e32 v72, 16, v41
	v_lshrrev_b32_e32 v71, 16, v42
	s_waitcnt lgkmcnt(2)
	v_lshrrev_b32_e32 v70, 16, v39
	v_lshrrev_b32_e32 v55, 16, v40
	s_waitcnt lgkmcnt(1)
	v_lshrrev_b32_e32 v66, 16, v21
	v_lshrrev_b32_e32 v50, 16, v22
	s_waitcnt lgkmcnt(0)
	v_lshrrev_b32_e32 v51, 16, v49
	v_mov_b32_e32 v23, v40
	v_mov_b32_e32 v30, v28
.LBB0_15:
	s_or_b32 exec_lo, exec_lo, s1
	v_sub_f16_e32 v90, v67, v51
	v_add_f16_e32 v93, v51, v67
	v_add_f16_e32 v74, v49, v32
	v_sub_f16_e32 v91, v65, v50
	v_sub_f16_e32 v75, v32, v49
	v_mul_f16_e32 v98, 0xbb29, v90
	v_mul_f16_e32 v102, 0x3722, v93
	;; [unrolled: 1-line block ×3, first 2 shown]
	v_add_f16_e32 v95, v50, v65
	v_add_f16_e32 v76, v22, v35
	v_fma_f16 v24, v74, 0x3722, -v98
	v_mul_f16_e32 v103, 0xba62, v91
	v_mul_f16_e32 v107, 0xbbf7, v90
	;; [unrolled: 1-line block ×3, first 2 shown]
	v_fmamk_f16 v27, v75, 0xbb29, v102
	v_fmamk_f16 v40, v75, 0xbbf7, v115
	v_add_f16_e32 v24, v31, v24
	v_mul_f16_e32 v126, 0xba62, v90
	v_sub_f16_e32 v77, v35, v22
	v_mul_f16_e32 v106, 0xb8d2, v95
	v_fma_f16 v78, v76, 0xb8d2, -v103
	v_mul_f16_e32 v122, 0xbbdd, v95
	v_mul_f16_e32 v147, 0xb461, v93
	v_fma_f16 v28, v74, 0x2de8, -v107
	v_fma_f16 v56, v74, 0xb461, -v123
	v_add_f16_e32 v27, v62, v27
	v_add_f16_e32 v40, v62, v40
	v_mul_f16_e32 v118, 0xb8d2, v93
	v_fma_f16 v58, v74, 0xb8d2, -v126
	v_mul_f16_e32 v114, 0xb1e1, v91
	v_fmamk_f16 v79, v77, 0xba62, v106
	v_add_f16_e32 v24, v78, v24
	v_mul_f16_e32 v150, 0x3836, v91
	v_fmamk_f16 v78, v77, 0xb1e1, v122
	v_mul_f16_e32 v182, 0x3bb2, v91
	v_fmamk_f16 v57, v75, 0xbbb2, v147
	v_add_f16_e32 v28, v31, v28
	v_add_f16_e32 v56, v31, v56
	v_fmamk_f16 v59, v75, 0xba62, v118
	v_add_f16_e32 v58, v31, v58
	v_fma_f16 v80, v76, 0xbbdd, -v114
	v_add_f16_e32 v27, v79, v27
	v_mul_f16_e32 v169, 0xbacd, v95
	v_fma_f16 v79, v76, 0xbacd, -v150
	v_mul_f16_e32 v168, 0xb461, v95
	v_add_f16_e32 v40, v78, v40
	v_fma_f16 v78, v76, 0xb461, -v182
	v_sub_f16_e32 v92, v61, v66
	v_add_f16_e32 v57, v62, v57
	v_add_f16_e32 v59, v62, v59
	;; [unrolled: 1-line block ×3, first 2 shown]
	v_fmamk_f16 v80, v77, 0x3836, v169
	v_add_f16_e32 v56, v79, v56
	v_fmamk_f16 v79, v77, 0x3bb2, v168
	v_add_f16_e32 v58, v78, v58
	v_add_f16_e32 v97, v66, v61
	;; [unrolled: 1-line block ×3, first 2 shown]
	v_mul_f16_e32 v108, 0x31e1, v92
	v_add_f16_e32 v57, v80, v57
	v_add_f16_e32 v59, v79, v59
	v_sub_f16_e32 v79, v36, v21
	v_mul_f16_e32 v116, 0xbbdd, v97
	v_fma_f16 v80, v78, 0xbbdd, -v108
	v_mul_f16_e32 v165, 0x3964, v92
	v_mul_f16_e32 v119, 0x3bb2, v92
	;; [unrolled: 1-line block ×3, first 2 shown]
	v_fmamk_f16 v81, v79, 0x31e1, v116
	v_add_f16_e32 v24, v80, v24
	v_fma_f16 v80, v78, 0x39e9, -v165
	v_mul_f16_e32 v177, 0x39e9, v97
	v_sub_f16_e32 v94, v63, v55
	v_fma_f16 v82, v78, 0xb461, -v119
	v_fmamk_f16 v83, v79, 0x3bb2, v130
	v_add_f16_e32 v27, v81, v27
	v_add_f16_e32 v56, v80, v56
	v_mul_f16_e32 v187, 0xb5c8, v92
	v_mul_f16_e32 v190, 0x3b76, v97
	v_fmamk_f16 v81, v79, 0x3964, v177
	v_add_f16_e32 v80, v23, v33
	v_mul_f16_e32 v117, 0x3bb2, v94
	v_add_f16_e32 v100, v55, v63
	v_add_f16_e32 v28, v82, v28
	;; [unrolled: 1-line block ×3, first 2 shown]
	v_fma_f16 v82, v78, 0x3b76, -v187
	v_fmamk_f16 v83, v79, 0xb5c8, v190
	v_add_f16_e32 v57, v81, v57
	v_fma_f16 v84, v80, 0xb461, -v117
	v_sub_f16_e32 v81, v33, v23
	v_mul_f16_e32 v120, 0xb461, v100
	v_mul_f16_e32 v127, 0x35c8, v94
	;; [unrolled: 1-line block ×3, first 2 shown]
	v_add_f16_e32 v58, v82, v58
	v_add_f16_e32 v59, v83, v59
	;; [unrolled: 1-line block ×3, first 2 shown]
	v_mul_f16_e32 v173, 0xbb29, v94
	v_fmamk_f16 v82, v81, 0x3bb2, v120
	v_mul_f16_e32 v179, 0x3722, v100
	v_fma_f16 v83, v80, 0x3b76, -v127
	v_fmamk_f16 v84, v81, 0x35c8, v149
	v_mul_f16_e32 v191, 0xb836, v94
	v_add_f16_e32 v105, v70, v73
	v_fma_f16 v85, v80, 0x3722, -v173
	v_add_f16_e32 v27, v82, v27
	v_fmamk_f16 v82, v81, 0xbb29, v179
	v_add_f16_e32 v28, v83, v28
	v_add_f16_e32 v40, v84, v40
	v_sub_f16_e32 v96, v73, v70
	v_mul_f16_e32 v194, 0xbacd, v100
	v_fma_f16 v84, v80, 0xbacd, -v191
	v_sub_f16_e32 v83, v34, v39
	v_mul_f16_e32 v128, 0x39e9, v105
	v_add_f16_e32 v56, v85, v56
	v_add_f16_e32 v57, v82, v57
	;; [unrolled: 1-line block ×3, first 2 shown]
	v_fmamk_f16 v85, v81, 0xb836, v194
	v_mul_f16_e32 v151, 0xbb29, v96
	v_add_f16_e32 v58, v84, v58
	v_fmamk_f16 v84, v83, 0x3964, v128
	v_mul_f16_e32 v167, 0x3722, v105
	v_mul_f16_e32 v121, 0x3964, v96
	v_add_f16_e32 v59, v85, v59
	v_fma_f16 v85, v82, 0x3722, -v151
	v_add_f16_e32 v27, v84, v27
	v_mul_f16_e32 v178, 0xb1e1, v96
	v_fmamk_f16 v84, v83, 0xbb29, v167
	v_mul_f16_e32 v195, 0x3bf7, v96
	v_fma_f16 v86, v82, 0x39e9, -v121
	v_add_f16_e32 v28, v85, v28
	v_mul_f16_e32 v185, 0xbbdd, v105
	v_fma_f16 v85, v82, 0xbbdd, -v178
	v_mul_f16_e32 v196, 0x2de8, v105
	v_add_f16_e32 v40, v84, v40
	v_fma_f16 v84, v82, 0x2de8, -v195
	v_sub_f16_e32 v99, v69, v71
	v_add_f16_e32 v24, v86, v24
	v_fmamk_f16 v86, v83, 0xb1e1, v185
	v_add_f16_e32 v56, v85, v56
	v_fmamk_f16 v85, v83, 0x3bf7, v196
	v_add_f16_e32 v58, v84, v58
	v_add_f16_e32 v110, v71, v69
	;; [unrolled: 1-line block ×3, first 2 shown]
	v_mul_f16_e32 v138, 0xb5c8, v99
	v_add_f16_e32 v57, v86, v57
	v_add_f16_e32 v59, v85, v59
	v_sub_f16_e32 v85, v37, v42
	v_mul_f16_e32 v157, 0x3b76, v110
	v_fma_f16 v86, v84, 0x3b76, -v138
	v_mul_f16_e32 v183, 0x3bf7, v99
	v_mul_f16_e32 v166, 0xb836, v99
	;; [unrolled: 1-line block ×3, first 2 shown]
	v_fmamk_f16 v87, v85, 0xb5c8, v157
	v_add_f16_e32 v24, v86, v24
	v_fma_f16 v86, v84, 0x2de8, -v183
	v_mul_f16_e32 v189, 0x2de8, v110
	v_sub_f16_e32 v104, v68, v72
	v_fma_f16 v88, v84, 0xbacd, -v166
	v_fmamk_f16 v89, v85, 0xb836, v174
	v_add_f16_e32 v27, v87, v27
	v_add_f16_e32 v56, v86, v56
	v_mul_f16_e32 v197, 0xb964, v99
	v_mul_f16_e32 v198, 0x39e9, v110
	v_fmamk_f16 v87, v85, 0x3bf7, v189
	v_add_f16_e32 v86, v41, v38
	v_add_f16_e32 v111, v72, v68
	v_mul_f16_e32 v186, 0xb5c8, v104
	v_add_f16_e32 v28, v88, v28
	v_add_f16_e32 v40, v89, v40
	v_mul_f16_e32 v161, 0xbbf7, v104
	v_fma_f16 v88, v84, 0x39e9, -v197
	v_fmamk_f16 v89, v85, 0xb964, v198
	v_add_f16_e32 v57, v87, v57
	v_sub_f16_e32 v87, v38, v41
	v_mul_f16_e32 v171, 0x2de8, v111
	v_mul_f16_e32 v175, 0x3a62, v104
	v_fma_f16 v109, v86, 0x3b76, -v186
	v_fma_f16 v101, v86, 0x2de8, -v161
	v_add_f16_e32 v58, v88, v58
	v_add_f16_e32 v59, v89, v59
	v_mul_f16_e32 v180, 0xb8d2, v111
	v_mul_f16_e32 v192, 0x3b76, v111
	v_fmamk_f16 v88, v87, 0xbbf7, v171
	v_fma_f16 v89, v86, 0xb8d2, -v175
	v_add_f16_e32 v124, v109, v56
	v_sub_f16_e32 v109, v60, v64
	v_add_f16_e32 v113, v64, v60
	v_add_f16_e32 v24, v101, v24
	v_fmamk_f16 v101, v87, 0x3a62, v180
	v_fmamk_f16 v112, v87, 0xb5c8, v192
	v_add_f16_e32 v27, v88, v27
	v_add_f16_e32 v28, v89, v28
	v_mul_f16_e32 v199, 0xb1e1, v104
	v_mul_f16_e32 v201, 0xbbdd, v111
	v_add_f16_e32 v88, v29, v30
	v_sub_f16_e32 v89, v30, v29
	v_mul_f16_e32 v172, 0xb836, v109
	v_mul_f16_e32 v176, 0xbacd, v113
	v_add_f16_e32 v101, v101, v40
	v_add_f16_e32 v57, v112, v57
	v_fma_f16 v40, v86, 0xbbdd, -v199
	v_mul_f16_e32 v181, 0x3964, v109
	v_fmamk_f16 v56, v87, 0xb1e1, v201
	v_fma_f16 v112, v88, 0xbacd, -v172
	v_fmamk_f16 v125, v89, 0xb836, v176
	v_mul_f16_e32 v184, 0x39e9, v113
	v_mul_f16_e32 v188, 0xba62, v109
	;; [unrolled: 1-line block ×5, first 2 shown]
	v_add_f16_e32 v129, v40, v58
	v_fma_f16 v58, v88, 0x39e9, -v181
	v_add_f16_e32 v131, v56, v59
	v_add_f16_e32 v40, v112, v24
	v_add_f16_e32 v56, v125, v27
	v_fmamk_f16 v24, v89, 0x3964, v184
	v_fma_f16 v27, v88, 0xb8d2, -v188
	v_fmamk_f16 v59, v89, 0xba62, v193
	v_fma_f16 v112, v88, 0x3722, -v200
	v_fmamk_f16 v125, v89, 0x3b29, v202
	v_add_f16_e32 v28, v58, v28
	v_add_f16_e32 v58, v24, v101
	;; [unrolled: 1-line block ×6, first 2 shown]
	s_barrier
	buffer_gl0_inv
	s_and_saveexec_b32 s1, vcc_lo
	s_cbranch_execz .LBB0_17
; %bb.16:
	v_mul_f16_e32 v132, 0xbbdd, v93
	v_mul_f16_e32 v125, 0x3b76, v95
	;; [unrolled: 1-line block ×5, first 2 shown]
	v_fmamk_f16 v101, v75, 0x31e1, v132
	v_fmamk_f16 v112, v77, 0xb5c8, v125
	v_fmamk_f16 v131, v74, 0xbbdd, v134
	v_mul_f16_e32 v129, 0x39e9, v100
	v_mul_f16_e32 v136, 0xb836, v92
	v_add_f16_e32 v101, v62, v101
	v_fmamk_f16 v139, v79, 0x3836, v124
	v_add_f16_e32 v131, v31, v131
	v_mul_f16_e32 v133, 0xb8d2, v105
	v_mul_f16_e32 v140, 0x3964, v94
	v_add_f16_e32 v101, v112, v101
	v_fmamk_f16 v112, v76, 0x3b76, v135
	v_fmamk_f16 v143, v81, 0xb964, v129
	v_mul_f16_e32 v142, 0xba62, v96
	v_mul_f16_e32 v137, 0x3722, v110
	v_add_f16_e32 v101, v139, v101
	v_fmamk_f16 v139, v78, 0xbacd, v136
	v_add_f16_e32 v112, v112, v131
	v_fmamk_f16 v131, v83, 0x3a62, v133
	v_mul_f16_e32 v153, 0x3b29, v99
	v_add_f16_e32 v101, v143, v101
	v_fmamk_f16 v143, v80, 0x39e9, v140
	v_add_f16_e32 v112, v139, v112
	v_mul_f16_e32 v141, 0xb461, v111
	v_fmamk_f16 v139, v85, 0xbb29, v137
	v_add_f16_e32 v101, v131, v101
	v_fmamk_f16 v131, v82, 0xb8d2, v142
	v_add_f16_e32 v112, v143, v112
	v_fmamk_f16 v144, v84, 0x3722, v153
	v_mul_f16_e32 v162, 0xbbb2, v104
	v_mul_f16_e32 v148, 0x2de8, v113
	v_fmamk_f16 v143, v87, 0x3bb2, v141
	v_add_f16_e32 v112, v131, v112
	v_add_f16_e32 v101, v139, v101
	v_mul_f16_e32 v139, 0xbacd, v93
	v_fmamk_f16 v145, v86, 0xb461, v162
	v_mul_f16_e32 v163, 0xb836, v90
	v_add_f16_e32 v112, v144, v112
	v_add_f16_e32 v101, v143, v101
	v_fmamk_f16 v143, v89, 0xbbf7, v148
	v_fmamk_f16 v144, v75, 0x3836, v139
	v_mul_f16_e32 v131, 0x3722, v95
	v_add_f16_e32 v112, v145, v112
	v_fmamk_f16 v145, v74, 0xbacd, v163
	v_mul_f16_e32 v164, 0x3b29, v91
	v_add_f16_e32 v101, v143, v101
	v_add_f16_e32 v144, v62, v144
	v_fmamk_f16 v146, v77, 0xbb29, v131
	v_mul_f16_e32 v143, 0x2de8, v97
	v_add_f16_e32 v155, v31, v145
	v_fmamk_f16 v156, v76, 0x3722, v164
	v_mul_f16_e32 v154, 0xbbf7, v92
	;; [unrolled: 3-line block ×7, first 2 shown]
	v_mul_f16_e32 v170, 0x3bf7, v109
	v_add_f16_e32 v160, v160, v158
	v_fmamk_f16 v204, v82, 0x3b76, v156
	v_mul_f16_e32 v158, 0xb1e1, v99
	v_add_f16_e32 v159, v159, v152
	v_fmamk_f16 v203, v85, 0x31e1, v146
	v_mul_f16_e32 v152, 0x39e9, v111
	v_fmamk_f16 v205, v88, 0x2de8, v170
	v_add_f16_e32 v160, v204, v160
	v_fmamk_f16 v204, v84, 0xbbdd, v158
	v_add_f16_e32 v203, v203, v159
	v_fmamk_f16 v206, v87, 0xb964, v152
	v_mul_f16_e32 v159, 0x3964, v104
	v_add_f16_e32 v112, v205, v112
	v_mul_f16_e32 v205, 0xba62, v75
	v_add_f16_e32 v204, v204, v160
	v_mul_f16_e32 v160, 0xb461, v113
	v_fmamk_f16 v207, v86, 0x39e9, v159
	v_mul_f16_e32 v208, 0x3bb2, v77
	v_add_f16_e32 v203, v206, v203
	v_sub_f16_e32 v118, v118, v205
	v_fmamk_f16 v205, v89, 0x3bb2, v160
	v_add_f16_e32 v204, v207, v204
	v_sub_f16_e32 v206, v168, v208
	v_mul_f16_e32 v168, 0xbbb2, v109
	v_add_f16_e32 v207, v62, v118
	v_add_f16_e32 v118, v205, v203
	v_mul_f16_e32 v203, 0xb8d2, v74
	v_mul_f16_e32 v205, 0xb5c8, v79
	v_fmamk_f16 v208, v88, 0xb461, v168
	v_add_f16_e32 v206, v206, v207
	v_mul_f16_e32 v207, 0xb461, v76
	v_add_f16_e32 v203, v203, v126
	v_sub_f16_e32 v190, v190, v205
	v_add_f16_e32 v126, v208, v204
	v_mul_f16_e32 v204, 0xb836, v81
	v_add_f16_e32 v182, v207, v182
	v_add_f16_e32 v203, v31, v203
	;; [unrolled: 1-line block ×3, first 2 shown]
	v_mul_f16_e32 v205, 0x3b76, v78
	v_sub_f16_e32 v194, v194, v204
	v_mul_f16_e32 v207, 0x31e1, v79
	v_add_f16_e32 v182, v182, v203
	v_mul_f16_e32 v203, 0x3bf7, v83
	v_add_f16_e32 v187, v205, v187
	v_add_f16_e32 v190, v194, v190
	v_mul_f16_e32 v194, 0xbacd, v80
	v_mul_f16_e32 v205, 0xbb29, v75
	v_sub_f16_e32 v196, v196, v203
	v_add_f16_e32 v182, v187, v182
	v_mul_f16_e32 v187, 0xb964, v85
	v_add_f16_e32 v191, v194, v191
	v_mul_f16_e32 v194, 0xbbf7, v75
	;; [unrolled: 2-line block ×3, first 2 shown]
	v_sub_f16_e32 v187, v198, v187
	v_add_f16_e32 v182, v191, v182
	v_mul_f16_e32 v191, 0xb1e1, v87
	v_mul_f16_e32 v198, 0xb461, v74
	v_add_f16_e32 v195, v196, v195
	v_add_f16_e32 v187, v187, v190
	v_mul_f16_e32 v190, 0x39e9, v84
	v_mul_f16_e32 v196, 0xbbb2, v75
	v_sub_f16_e32 v191, v201, v191
	v_add_f16_e32 v182, v195, v182
	v_mul_f16_e32 v195, 0x3b29, v89
	v_add_f16_e32 v190, v190, v197
	v_sub_f16_e32 v147, v147, v196
	v_add_f16_e32 v187, v191, v187
	v_add_f16_e32 v123, v198, v123
	v_sub_f16_e32 v195, v202, v195
	v_mul_f16_e32 v202, 0xbbdd, v86
	v_add_f16_e32 v182, v190, v182
	v_mul_f16_e32 v190, 0x3836, v77
	v_add_f16_e32 v147, v62, v147
	v_add_f16_e32 v123, v31, v123
	;; [unrolled: 1-line block ×3, first 2 shown]
	v_mul_f16_e32 v202, 0x3722, v88
	v_sub_f16_e32 v169, v169, v190
	v_mul_f16_e32 v190, 0xbacd, v76
	v_mul_f16_e32 v196, 0xb1e1, v77
	v_add_f16_e32 v182, v199, v182
	v_mul_f16_e32 v199, 0x3964, v79
	v_add_f16_e32 v200, v202, v200
	v_add_f16_e32 v206, v169, v147
	;; [unrolled: 1-line block ×3, first 2 shown]
	v_mul_f16_e32 v195, 0x39e9, v78
	v_sub_f16_e32 v177, v177, v199
	v_add_f16_e32 v169, v200, v182
	v_mul_f16_e32 v182, 0xbb29, v81
	v_add_f16_e32 v150, v190, v150
	v_add_f16_e32 v165, v195, v165
	;; [unrolled: 1-line block ×3, first 2 shown]
	v_mul_f16_e32 v195, 0x3722, v80
	v_sub_f16_e32 v179, v179, v182
	v_mul_f16_e32 v182, 0xb1e1, v83
	v_add_f16_e32 v123, v150, v123
	v_mul_f16_e32 v150, 0x3bf7, v85
	v_sub_f16_e32 v115, v115, v194
	v_add_f16_e32 v177, v179, v177
	v_sub_f16_e32 v182, v185, v182
	v_add_f16_e32 v123, v165, v123
	v_sub_f16_e32 v150, v189, v150
	v_mul_f16_e32 v165, 0xb5c8, v87
	v_mul_f16_e32 v187, 0x3bb2, v79
	v_add_f16_e32 v177, v182, v177
	v_add_f16_e32 v173, v195, v173
	v_sub_f16_e32 v122, v122, v196
	v_sub_f16_e32 v165, v192, v165
	v_mul_f16_e32 v192, 0xbbdd, v82
	v_add_f16_e32 v150, v150, v177
	v_add_f16_e32 v115, v62, v115
	v_mul_f16_e32 v185, 0x35c8, v81
	v_add_f16_e32 v123, v173, v123
	v_add_f16_e32 v178, v192, v178
	;; [unrolled: 1-line block ×3, first 2 shown]
	v_mul_f16_e32 v165, 0x2de8, v84
	v_add_f16_e32 v115, v122, v115
	v_sub_f16_e32 v130, v130, v187
	v_mul_f16_e32 v203, 0x2de8, v74
	v_mul_f16_e32 v177, 0xbb29, v83
	v_add_f16_e32 v123, v178, v123
	v_mul_f16_e32 v122, 0xba62, v89
	v_add_f16_e32 v165, v165, v183
	;; [unrolled: 2-line block ×3, first 2 shown]
	v_sub_f16_e32 v149, v149, v185
	v_mul_f16_e32 v191, 0xbbdd, v76
	v_mul_f16_e32 v196, 0xb836, v85
	v_sub_f16_e32 v122, v193, v122
	v_add_f16_e32 v107, v203, v107
	v_add_f16_e32 v123, v165, v123
	;; [unrolled: 1-line block ×4, first 2 shown]
	v_sub_f16_e32 v149, v167, v177
	v_mul_f16_e32 v197, 0xba62, v77
	v_mul_f16_e32 v199, 0xb461, v78
	v_add_f16_e32 v114, v191, v114
	v_add_f16_e32 v203, v31, v107
	;; [unrolled: 1-line block ×5, first 2 shown]
	v_sub_f16_e32 v123, v174, v196
	v_sub_f16_e32 v102, v102, v205
	v_mul_f16_e32 v179, 0x3b76, v80
	v_add_f16_e32 v114, v114, v203
	v_add_f16_e32 v119, v199, v119
	;; [unrolled: 1-line block ×4, first 2 shown]
	v_sub_f16_e32 v106, v106, v197
	v_mul_f16_e32 v204, 0x3722, v74
	v_mul_f16_e32 v190, 0x3bb2, v81
	;; [unrolled: 1-line block ×4, first 2 shown]
	v_add_f16_e32 v114, v119, v114
	v_add_f16_e32 v119, v179, v127
	;; [unrolled: 1-line block ×3, first 2 shown]
	v_sub_f16_e32 v116, v116, v207
	v_mul_f16_e32 v201, 0xb8d2, v76
	v_mul_f16_e32 v189, 0x3964, v83
	;; [unrolled: 1-line block ×4, first 2 shown]
	v_sub_f16_e32 v127, v180, v193
	v_add_f16_e32 v114, v119, v114
	v_add_f16_e32 v119, v195, v151
	;; [unrolled: 1-line block ×4, first 2 shown]
	v_sub_f16_e32 v116, v120, v190
	v_mul_f16_e32 v202, 0xbbdd, v78
	v_mul_f16_e32 v194, 0xb5c8, v85
	;; [unrolled: 1-line block ×3, first 2 shown]
	v_add_f16_e32 v115, v127, v115
	v_add_f16_e32 v114, v119, v114
	;; [unrolled: 1-line block ×3, first 2 shown]
	v_sub_f16_e32 v120, v184, v200
	v_add_f16_e32 v98, v31, v98
	v_add_f16_e32 v103, v201, v103
	;; [unrolled: 1-line block ×3, first 2 shown]
	v_sub_f16_e32 v116, v128, v189
	v_mul_f16_e32 v198, 0xb461, v80
	v_mul_f16_e32 v187, 0xbbf7, v87
	;; [unrolled: 1-line block ×3, first 2 shown]
	v_add_f16_e32 v114, v119, v114
	v_add_f16_e32 v119, v183, v175
	v_add_f16_e32 v98, v103, v98
	v_add_f16_e32 v103, v202, v108
	v_add_f16_e32 v108, v120, v115
	v_add_f16_e32 v106, v116, v106
	v_sub_f16_e32 v115, v157, v194
	v_mul_f16_e32 v182, 0x39e9, v82
	v_add_f16_e32 v114, v119, v114
	v_add_f16_e32 v98, v103, v98
	;; [unrolled: 1-line block ×5, first 2 shown]
	v_sub_f16_e32 v115, v171, v187
	v_mul_f16_e32 v117, 0x39e9, v93
	v_mul_f16_e32 v173, 0x3b76, v84
	;; [unrolled: 1-line block ×3, first 2 shown]
	v_add_f16_e32 v98, v103, v98
	v_add_f16_e32 v103, v182, v121
	;; [unrolled: 1-line block ×4, first 2 shown]
	v_fmamk_f16 v115, v75, 0x3964, v117
	v_mul_f16_e32 v116, 0x2de8, v95
	v_mul_f16_e32 v178, 0x2de8, v86
	;; [unrolled: 1-line block ×3, first 2 shown]
	v_add_f16_e32 v98, v103, v98
	v_add_f16_e32 v103, v173, v138
	v_sub_f16_e32 v119, v176, v185
	v_add_f16_e32 v115, v62, v115
	v_fmamk_f16 v120, v77, 0x3bf7, v116
	v_mul_f16_e32 v121, 0xb8d2, v97
	v_mul_f16_e32 v130, 0xbacd, v88
	v_add_f16_e32 v149, v191, v188
	v_add_f16_e32 v98, v103, v98
	;; [unrolled: 1-line block ×5, first 2 shown]
	v_fmamk_f16 v119, v79, 0x3a62, v121
	v_mul_f16_e32 v120, 0xbbdd, v100
	v_add_f16_e32 v102, v149, v122
	v_add_f16_e32 v98, v103, v98
	;; [unrolled: 1-line block ×3, first 2 shown]
	v_mul_f16_e32 v122, 0xb964, v90
	v_add_f16_e32 v115, v119, v115
	v_fmamk_f16 v119, v81, 0x31e1, v120
	v_mul_f16_e32 v123, 0xbacd, v105
	v_add_f16_e32 v98, v103, v98
	v_fmamk_f16 v103, v74, 0x39e9, v122
	;; [unrolled: 3-line block ×17, first 2 shown]
	v_mul_f16_e32 v90, 0xb5c8, v90
	v_add_f16_e32 v32, v32, v31
	v_mul_f16_e32 v91, 0xb964, v91
	v_add_f16_e32 v119, v130, v119
	v_fmamk_f16 v130, v85, 0x3a62, v110
	v_add_f16_e32 v103, v161, v103
	v_fmamk_f16 v161, v74, 0x3b76, v90
	v_add_f16_e32 v32, v35, v32
	v_add_f16_e32 v35, v67, v62
	;; [unrolled: 1-line block ×3, first 2 shown]
	v_mul_f16_e32 v67, 0xbb29, v92
	v_add_f16_e32 v130, v31, v161
	v_fmamk_f16 v161, v76, 0x39e9, v91
	v_add_f16_e32 v32, v36, v32
	v_add_f16_e32 v35, v65, v35
	v_fmamk_f16 v36, v78, 0x3722, v67
	v_mul_f16_e32 v65, 0xbbf7, v94
	v_add_f16_e32 v130, v161, v130
	v_add_f16_e32 v32, v33, v32
	;; [unrolled: 1-line block ×3, first 2 shown]
	v_mul_f16_e32 v61, 0xbbb2, v96
	v_fmac_f16_e32 v132, 0xb1e1, v75
	v_add_f16_e32 v35, v36, v130
	v_fmamk_f16 v36, v80, 0x2de8, v65
	v_add_f16_e32 v32, v34, v32
	v_add_f16_e32 v33, v63, v33
	v_fmac_f16_e32 v125, 0x35c8, v77
	v_fmac_f16_e32 v124, 0xb836, v79
	v_add_f16_e32 v35, v36, v35
	v_fmamk_f16 v36, v82, 0xb461, v61
	v_add_f16_e32 v32, v37, v32
	v_add_f16_e32 v33, v73, v33
	v_mul_f16_e32 v37, 0xba62, v99
	v_fmac_f16_e32 v129, 0x3964, v81
	v_add_f16_e32 v35, v36, v35
	v_add_f16_e32 v32, v38, v32
	;; [unrolled: 1-line block ×3, first 2 shown]
	v_fmamk_f16 v36, v84, 0xb8d2, v37
	v_mul_f16_e32 v38, 0xb836, v104
	v_fmac_f16_e32 v133, 0xba62, v83
	v_add_f16_e32 v30, v30, v32
	v_add_f16_e32 v32, v68, v33
	;; [unrolled: 1-line block ×3, first 2 shown]
	v_fmamk_f16 v35, v86, 0xbacd, v38
	v_mul_f16_e32 v36, 0xb1e1, v109
	v_add_f16_e32 v29, v29, v30
	v_add_f16_e32 v30, v60, v32
	v_fmac_f16_e32 v137, 0x3b29, v85
	v_add_f16_e32 v32, v35, v33
	v_fmamk_f16 v33, v88, 0xbbdd, v36
	v_add_f16_e32 v29, v41, v29
	v_add_f16_e32 v30, v64, v30
	;; [unrolled: 1-line block ×3, first 2 shown]
	v_fma_f16 v41, v76, 0x3b76, -v135
	v_add_f16_e32 v32, v33, v32
	v_fma_f16 v33, v74, 0xbbdd, -v134
	v_add_f16_e32 v29, v42, v29
	v_add_f16_e32 v30, v72, v30
	;; [unrolled: 1-line block ×3, first 2 shown]
	v_fmac_f16_e32 v139, 0xb836, v75
	v_add_f16_e32 v33, v31, v33
	v_add_f16_e32 v29, v39, v29
	;; [unrolled: 1-line block ×4, first 2 shown]
	v_fma_f16 v39, v78, 0xbacd, -v136
	v_add_f16_e32 v33, v41, v33
	v_add_f16_e32 v23, v23, v29
	;; [unrolled: 1-line block ×4, first 2 shown]
	v_fma_f16 v35, v80, 0x39e9, -v140
	v_add_f16_e32 v33, v39, v33
	v_add_f16_e32 v21, v21, v23
	;; [unrolled: 1-line block ×4, first 2 shown]
	v_fmac_f16_e32 v131, 0x3b29, v77
	v_add_f16_e32 v30, v35, v33
	v_fma_f16 v33, v82, 0xb8d2, -v142
	v_add_f16_e32 v21, v22, v21
	v_add_f16_e32 v22, v66, v23
	v_add_f16_e32 v23, v137, v29
	v_add_f16_e32 v35, v62, v139
	v_add_f16_e32 v29, v33, v30
	v_fma_f16 v30, v84, 0x3722, -v153
	v_fma_f16 v33, v74, 0xbacd, -v163
	;; [unrolled: 1-line block ×3, first 2 shown]
	v_fmac_f16_e32 v117, 0xb964, v75
	v_fmac_f16_e32 v116, 0xbbf7, v77
	v_add_f16_e32 v29, v30, v29
	v_fma_f16 v30, v86, 0xb461, -v162
	v_add_f16_e32 v33, v31, v33
	v_fmac_f16_e32 v121, 0xba62, v79
	v_fmac_f16_e32 v120, 0xb1e1, v81
	;; [unrolled: 1-line block ×3, first 2 shown]
	v_add_f16_e32 v29, v30, v29
	v_fma_f16 v30, v88, 0x2de8, -v170
	v_add_f16_e32 v33, v39, v33
	v_add_f16_e32 v39, v62, v117
	v_fmac_f16_e32 v128, 0x3bb2, v85
	v_fmac_f16_e32 v149, 0x3b29, v87
	v_add_f16_e32 v29, v30, v29
	v_add_f16_e32 v30, v131, v35
	v_fma_f16 v35, v78, 0x2de8, -v154
	v_add_f16_e32 v39, v116, v39
	v_fma_f16 v41, v74, 0x39e9, -v122
	v_fmac_f16_e32 v93, 0xb5c8, v75
	v_add_f16_e32 v21, v49, v21
	v_add_f16_e32 v33, v35, v33
	v_fma_f16 v35, v80, 0xb8d2, -v155
	v_add_f16_e32 v39, v121, v39
	v_fma_f16 v49, v74, 0x3b76, -v90
	v_add_f16_e32 v42, v62, v93
	v_fmac_f16_e32 v95, 0xb964, v77
	v_add_f16_e32 v33, v35, v33
	v_fma_f16 v35, v82, 0x3b76, -v156
	v_add_f16_e32 v39, v120, v39
	v_fmac_f16_e32 v143, 0xbbf7, v79
	v_add_f16_e32 v42, v95, v42
	v_fmac_f16_e32 v97, 0xbb29, v79
	v_add_f16_e32 v33, v35, v33
	v_fma_f16 v35, v84, 0xbbdd, -v158
	v_add_f16_e32 v39, v123, v39
	v_add_f16_e32 v30, v143, v30
	v_fmac_f16_e32 v144, 0x3a62, v81
	v_add_f16_e32 v42, v97, v42
	v_add_f16_e32 v33, v35, v33
	v_fma_f16 v35, v86, 0x39e9, -v159
	v_add_f16_e32 v39, v128, v39
	v_fmac_f16_e32 v100, 0xbbf7, v81
	v_mul_f16_e32 v111, 0xbacd, v111
	v_add_f16_e32 v30, v144, v30
	v_add_f16_e32 v33, v35, v33
	v_fma_f16 v35, v88, 0xb461, -v168
	v_fmac_f16_e32 v145, 0xb5c8, v83
	v_add_f16_e32 v42, v100, v42
	v_fmac_f16_e32 v105, 0xbbb2, v83
	v_fmamk_f16 v92, v87, 0x3836, v111
	v_add_f16_e32 v33, v35, v33
	v_add_f16_e32 v35, v149, v39
	;; [unrolled: 1-line block ×3, first 2 shown]
	v_fma_f16 v41, v76, 0x2de8, -v127
	v_add_f16_e32 v31, v31, v49
	v_fma_f16 v49, v76, 0x39e9, -v91
	v_mul_f16_e32 v34, 0xbbdd, v113
	v_mul_f16_e32 v166, 0x3b76, v113
	v_add_f16_e32 v39, v41, v39
	v_fma_f16 v41, v78, 0xb8d2, -v138
	v_add_f16_e32 v31, v49, v31
	v_fma_f16 v49, v78, 0x3722, -v67
	v_add_f16_e32 v30, v145, v30
	v_fmac_f16_e32 v146, 0xb1e1, v85
	v_add_f16_e32 v39, v41, v39
	v_fma_f16 v41, v80, 0xbbdd, -v150
	v_add_f16_e32 v31, v49, v31
	v_fma_f16 v49, v80, 0x2de8, -v65
	v_add_f16_e32 v42, v105, v42
	v_fmac_f16_e32 v110, 0xba62, v85
	v_add_f16_e32 v39, v41, v39
	v_fma_f16 v41, v82, 0xbacd, -v151
	v_add_f16_e32 v31, v49, v31
	v_fma_f16 v49, v82, 0xb461, -v61
	v_fma_f16 v37, v84, 0xb8d2, -v37
	v_add_f16_e32 v92, v92, v119
	v_add_f16_e32 v39, v41, v39
	v_fma_f16 v41, v84, 0xb461, -v157
	v_add_f16_e32 v31, v49, v31
	v_fmamk_f16 v63, v89, 0x31e1, v34
	v_fmac_f16_e32 v141, 0xbbb2, v87
	v_add_f16_e32 v22, v50, v22
	v_fmamk_f16 v167, v89, 0xb5c8, v166
	v_add_f16_e32 v30, v146, v30
	v_fmac_f16_e32 v152, 0x3964, v87
	v_add_f16_e32 v39, v41, v39
	v_fma_f16 v41, v86, 0x3722, -v165
	v_add_f16_e32 v42, v110, v42
	v_fmac_f16_e32 v111, 0xb836, v87
	v_add_f16_e32 v31, v37, v31
	v_fma_f16 v37, v86, 0xbacd, -v38
	v_add_f16_e32 v63, v63, v92
	v_add_f16_e32 v23, v141, v23
	v_fmac_f16_e32 v148, 0x3bf7, v89
	v_add_f16_e32 v22, v51, v22
	v_and_b32_e32 v38, 0xffff, v47
	v_add_f16_e32 v115, v167, v115
	v_add_f16_e32 v30, v152, v30
	v_fmac_f16_e32 v160, 0xbbb2, v89
	v_add_f16_e32 v39, v41, v39
	v_fma_f16 v41, v88, 0x3b76, -v171
	v_add_f16_e32 v42, v111, v42
	v_fmac_f16_e32 v34, 0xb1e1, v89
	v_fmac_f16_e32 v166, 0x35c8, v89
	v_add_f16_e32 v31, v37, v31
	v_fma_f16 v36, v88, 0xbbdd, -v36
	v_add_f16_e32 v23, v148, v23
	v_lshl_add_u32 v37, v38, 2, v46
	v_pack_b32_f16 v32, v32, v63
	v_pack_b32_f16 v21, v21, v22
	v_add_f16_e32 v30, v160, v30
	v_pack_b32_f16 v22, v98, v106
	v_pack_b32_f16 v38, v103, v115
	v_add_f16_e32 v39, v41, v39
	v_add_f16_e32 v34, v34, v42
	v_pack_b32_f16 v41, v102, v107
	v_pack_b32_f16 v42, v114, v108
	v_add_f16_e32 v35, v166, v35
	v_pack_b32_f16 v46, v169, v147
	v_pack_b32_f16 v47, v126, v118
	v_add_f16_e32 v31, v36, v31
	ds_write2_b32 v37, v21, v32 offset1:1
	ds_write2_b32 v37, v38, v22 offset0:2 offset1:3
	ds_write2_b32 v37, v42, v41 offset0:4 offset1:5
	ds_write2_b32 v37, v46, v47 offset0:6 offset1:7
	v_pack_b32_f16 v21, v29, v23
	v_pack_b32_f16 v22, v112, v101
	;; [unrolled: 1-line block ×3, first 2 shown]
	v_perm_b32 v29, v57, v24, 0x5040100
	v_perm_b32 v30, v58, v28, 0x5040100
	;; [unrolled: 1-line block ×3, first 2 shown]
	v_pack_b32_f16 v33, v39, v35
	v_perm_b32 v35, v56, v40, 0x5040100
	v_pack_b32_f16 v31, v31, v34
	ds_write2_b32 v37, v22, v21 offset0:8 offset1:9
	ds_write2_b32 v37, v23, v29 offset0:10 offset1:11
	;; [unrolled: 1-line block ×4, first 2 shown]
	ds_write_b32 v37, v31 offset:64
.LBB0_17:
	s_or_b32 exec_lo, exec_lo, s1
	s_waitcnt lgkmcnt(0)
	s_barrier
	buffer_gl0_inv
	ds_read2_b32 v[21:22], v48 offset1:85
	ds_read2_b32 v[31:32], v48 offset0:170 offset1:255
	v_add_nc_u32_e32 v30, 0x400, v48
	v_add_nc_u32_e32 v35, 0x600, v48
	;; [unrolled: 1-line block ×3, first 2 shown]
	ds_read_b32 v23, v48 offset:3400
	ds_read2_b32 v[33:34], v30 offset0:84 offset1:169
	ds_read2_b32 v[35:36], v35 offset0:126 offset1:211
	;; [unrolled: 1-line block ×3, first 2 shown]
	s_waitcnt lgkmcnt(0)
	s_barrier
	buffer_gl0_inv
	v_lshrrev_b32_e32 v39, 16, v22
	v_lshrrev_b32_e32 v41, 16, v31
	v_mul_f16_sdwa v47, v8, v22 dst_sel:DWORD dst_unused:UNUSED_PAD src0_sel:WORD_1 src1_sel:DWORD
	v_lshrrev_b32_e32 v42, 16, v32
	v_mul_f16_sdwa v49, v9, v31 dst_sel:DWORD dst_unused:UNUSED_PAD src0_sel:WORD_1 src1_sel:DWORD
	v_lshrrev_b32_e32 v51, 16, v33
	v_mul_f16_sdwa v63, v8, v39 dst_sel:DWORD dst_unused:UNUSED_PAD src0_sel:WORD_1 src1_sel:DWORD
	v_lshrrev_b32_e32 v55, 16, v34
	v_mul_f16_sdwa v64, v9, v41 dst_sel:DWORD dst_unused:UNUSED_PAD src0_sel:WORD_1 src1_sel:DWORD
	v_fma_f16 v39, v8, v39, -v47
	v_mul_f16_sdwa v47, v10, v42 dst_sel:DWORD dst_unused:UNUSED_PAD src0_sel:WORD_1 src1_sel:DWORD
	v_fmac_f16_e32 v63, v8, v22
	v_mul_f16_sdwa v8, v11, v51 dst_sel:DWORD dst_unused:UNUSED_PAD src0_sel:WORD_1 src1_sel:DWORD
	v_mul_f16_sdwa v22, v11, v33 dst_sel:DWORD dst_unused:UNUSED_PAD src0_sel:WORD_1 src1_sel:DWORD
	v_fmac_f16_e32 v64, v9, v31
	v_mul_f16_sdwa v31, v4, v55 dst_sel:DWORD dst_unused:UNUSED_PAD src0_sel:WORD_1 src1_sel:DWORD
	v_mul_f16_sdwa v50, v10, v32 dst_sel:DWORD dst_unused:UNUSED_PAD src0_sel:WORD_1 src1_sel:DWORD
	v_fmac_f16_e32 v8, v11, v33
	v_fma_f16 v11, v11, v51, -v22
	v_add_f16_e32 v22, v21, v63
	v_lshrrev_b32_e32 v60, 16, v35
	v_fma_f16 v9, v9, v41, -v49
	v_fmac_f16_e32 v47, v10, v32
	v_mul_f16_sdwa v32, v4, v34 dst_sel:DWORD dst_unused:UNUSED_PAD src0_sel:WORD_1 src1_sel:DWORD
	v_fmac_f16_e32 v31, v4, v34
	v_add_f16_sdwa v34, v21, v39 dst_sel:DWORD dst_unused:UNUSED_PAD src0_sel:WORD_1 src1_sel:DWORD
	v_add_f16_e32 v22, v22, v64
	v_lshrrev_b32_e32 v61, 16, v36
	v_fma_f16 v10, v10, v42, -v50
	v_mul_f16_sdwa v33, v5, v60 dst_sel:DWORD dst_unused:UNUSED_PAD src0_sel:WORD_1 src1_sel:DWORD
	v_fma_f16 v4, v4, v55, -v32
	v_mul_f16_sdwa v32, v5, v35 dst_sel:DWORD dst_unused:UNUSED_PAD src0_sel:WORD_1 src1_sel:DWORD
	v_add_f16_e32 v34, v34, v9
	v_add_f16_e32 v22, v22, v47
	v_lshrrev_b32_e32 v62, 16, v37
	v_fmac_f16_e32 v33, v5, v35
	v_mul_f16_sdwa v35, v6, v61 dst_sel:DWORD dst_unused:UNUSED_PAD src0_sel:WORD_1 src1_sel:DWORD
	v_fma_f16 v5, v5, v60, -v32
	v_add_f16_e32 v32, v34, v10
	v_add_f16_e32 v22, v22, v8
	v_lshrrev_b32_e32 v65, 16, v38
	v_mul_f16_sdwa v41, v6, v36 dst_sel:DWORD dst_unused:UNUSED_PAD src0_sel:WORD_1 src1_sel:DWORD
	v_fmac_f16_e32 v35, v6, v36
	v_mul_f16_sdwa v34, v7, v62 dst_sel:DWORD dst_unused:UNUSED_PAD src0_sel:WORD_1 src1_sel:DWORD
	v_add_f16_e32 v32, v32, v11
	v_add_f16_e32 v22, v22, v31
	v_mul_f16_sdwa v36, v7, v37 dst_sel:DWORD dst_unused:UNUSED_PAD src0_sel:WORD_1 src1_sel:DWORD
	v_lshrrev_b32_e32 v46, 16, v23
	v_fma_f16 v6, v6, v61, -v41
	v_mul_f16_sdwa v41, v25, v65 dst_sel:DWORD dst_unused:UNUSED_PAD src0_sel:WORD_1 src1_sel:DWORD
	v_fmac_f16_e32 v34, v7, v37
	v_add_f16_e32 v32, v32, v4
	v_add_f16_e32 v22, v22, v33
	v_fma_f16 v7, v7, v62, -v36
	v_mul_f16_sdwa v36, v26, v23 dst_sel:DWORD dst_unused:UNUSED_PAD src0_sel:WORD_1 src1_sel:DWORD
	v_fmac_f16_e32 v41, v25, v38
	v_add_f16_e32 v32, v32, v5
	v_add_f16_e32 v22, v22, v35
	v_mul_f16_sdwa v37, v25, v38 dst_sel:DWORD dst_unused:UNUSED_PAD src0_sel:WORD_1 src1_sel:DWORD
	v_mul_f16_sdwa v38, v26, v46 dst_sel:DWORD dst_unused:UNUSED_PAD src0_sel:WORD_1 src1_sel:DWORD
	v_fma_f16 v36, v26, v46, -v36
	v_add_f16_e32 v32, v32, v6
	v_add_f16_e32 v22, v22, v34
	v_fma_f16 v25, v25, v65, -v37
	v_fmac_f16_e32 v38, v26, v23
	v_sub_f16_e32 v23, v39, v36
	v_add_f16_e32 v26, v32, v7
	v_add_f16_e32 v22, v22, v41
	;; [unrolled: 1-line block ×4, first 2 shown]
	v_mul_f16_e32 v39, 0xb853, v23
	v_sub_f16_e32 v70, v9, v25
	v_add_f16_e32 v26, v26, v25
	v_sub_f16_e32 v42, v63, v38
	v_mul_f16_e32 v46, 0x3abb, v32
	v_fmamk_f16 v49, v37, 0x3abb, v39
	v_add_f16_e32 v22, v22, v38
	v_mul_f16_e32 v38, 0xbb47, v23
	v_mul_f16_e32 v51, 0x36a6, v32
	v_mul_f16_e32 v55, 0xbbeb, v23
	v_mul_f16_e32 v62, 0xb08e, v32
	v_mul_f16_e32 v65, 0xba0c, v23
	v_mul_f16_e32 v66, 0xb93d, v32
	v_mul_f16_e32 v23, 0xb482, v23
	v_mul_f16_e32 v32, 0xbbad, v32
	v_add_f16_e32 v72, v64, v41
	v_mul_f16_e32 v73, 0xbb47, v70
	v_add_f16_e32 v9, v9, v25
	v_add_f16_e32 v26, v26, v36
	v_fmamk_f16 v36, v42, 0x3853, v46
	v_add_f16_e32 v49, v21, v49
	v_fma_f16 v39, v37, 0x3abb, -v39
	v_fmac_f16_e32 v46, 0xb853, v42
	v_fmamk_f16 v50, v37, 0x36a6, v38
	v_fmamk_f16 v60, v42, 0x3b47, v51
	v_fma_f16 v38, v37, 0x36a6, -v38
	v_fmac_f16_e32 v51, 0xbb47, v42
	v_fmamk_f16 v61, v37, 0xb08e, v55
	v_fmamk_f16 v63, v42, 0x3beb, v62
	;; [unrolled: 4-line block ×4, first 2 shown]
	v_fma_f16 v23, v37, 0xbbad, -v23
	v_fmac_f16_e32 v32, 0xb482, v42
	v_sub_f16_e32 v25, v64, v41
	v_fmamk_f16 v37, v72, 0x36a6, v73
	v_mul_f16_e32 v41, 0x36a6, v9
	v_add_f16_sdwa v36, v21, v36 dst_sel:DWORD dst_unused:UNUSED_PAD src0_sel:WORD_1 src1_sel:DWORD
	v_add_f16_e32 v39, v21, v39
	v_add_f16_sdwa v46, v21, v46 dst_sel:DWORD dst_unused:UNUSED_PAD src0_sel:WORD_1 src1_sel:DWORD
	v_add_f16_e32 v50, v21, v50
	;; [unrolled: 2-line block ×10, first 2 shown]
	v_fmamk_f16 v37, v25, 0x3b47, v41
	v_mul_f16_e32 v49, 0xba0c, v70
	v_fma_f16 v64, v72, 0x36a6, -v73
	v_fmac_f16_e32 v41, 0xbb47, v25
	v_mul_f16_e32 v71, 0xb93d, v9
	v_add_f16_e32 v36, v37, v36
	v_fmamk_f16 v37, v72, 0xb93d, v49
	v_add_f16_e32 v39, v64, v39
	v_add_f16_e32 v41, v41, v46
	v_fmamk_f16 v46, v25, 0x3a0c, v71
	v_mul_f16_e32 v64, 0x3482, v70
	v_add_f16_e32 v37, v37, v50
	v_fma_f16 v49, v72, 0xb93d, -v49
	v_fmac_f16_e32 v71, 0xba0c, v25
	v_add_f16_e32 v46, v46, v60
	v_fmamk_f16 v50, v72, 0xbbad, v64
	v_mul_f16_e32 v60, 0xbbad, v9
	v_add_f16_e32 v38, v49, v38
	v_add_f16_e32 v49, v71, v51
	v_mul_f16_e32 v51, 0x3beb, v70
	v_add_f16_e32 v50, v50, v61
	v_fmamk_f16 v61, v25, 0xb482, v60
	v_mul_f16_e32 v73, 0xb08e, v9
	v_fma_f16 v64, v72, 0xbbad, -v64
	v_fmamk_f16 v71, v72, 0xb08e, v51
	v_mul_f16_e32 v9, 0x3abb, v9
	v_add_f16_e32 v61, v61, v63
	v_fmamk_f16 v63, v25, 0xbbeb, v73
	v_fma_f16 v51, v72, 0xb08e, -v51
	v_fmac_f16_e32 v73, 0x3beb, v25
	v_fmac_f16_e32 v60, 0x3482, v25
	v_add_f16_e32 v55, v64, v55
	v_mul_f16_e32 v64, 0x3853, v70
	v_add_f16_e32 v63, v63, v68
	v_fmamk_f16 v68, v25, 0xb853, v9
	v_add_f16_e32 v51, v51, v65
	v_add_f16_e32 v65, v73, v66
	v_sub_f16_e32 v66, v10, v7
	v_add_f16_e32 v7, v10, v7
	v_add_f16_e32 v60, v60, v62
	;; [unrolled: 1-line block ×3, first 2 shown]
	v_fmamk_f16 v67, v72, 0x3abb, v64
	v_add_f16_e32 v42, v68, v42
	v_add_f16_e32 v68, v47, v34
	v_mul_f16_e32 v10, 0xbbeb, v66
	v_fma_f16 v64, v72, 0x3abb, -v64
	v_fmac_f16_e32 v9, 0x3853, v25
	v_sub_f16_e32 v25, v47, v34
	v_mul_f16_e32 v34, 0xb08e, v7
	v_fmamk_f16 v47, v68, 0xb08e, v10
	v_add_f16_e32 v23, v64, v23
	v_add_f16_e32 v9, v9, v21
	v_mul_f16_e32 v21, 0x3482, v66
	v_fmamk_f16 v64, v25, 0x3beb, v34
	v_add_f16_e32 v32, v47, v32
	v_fma_f16 v10, v68, 0xb08e, -v10
	v_fmac_f16_e32 v34, 0xbbeb, v25
	v_fmamk_f16 v47, v68, 0xbbad, v21
	v_add_f16_e32 v36, v64, v36
	v_mul_f16_e32 v64, 0xbbad, v7
	v_add_f16_e32 v10, v10, v39
	v_add_f16_e32 v34, v34, v41
	;; [unrolled: 1-line block ×3, first 2 shown]
	v_mul_f16_e32 v39, 0x3b47, v66
	v_fmamk_f16 v41, v25, 0xb482, v64
	v_mul_f16_e32 v47, 0x36a6, v7
	v_add_f16_e32 v67, v67, v69
	v_fma_f16 v21, v68, 0xbbad, -v21
	v_fmac_f16_e32 v64, 0x3482, v25
	v_fmamk_f16 v69, v68, 0x36a6, v39
	v_add_f16_e32 v41, v41, v46
	v_fmamk_f16 v46, v25, 0xbb47, v47
	v_add_f16_e32 v21, v21, v38
	v_add_f16_e32 v38, v64, v49
	;; [unrolled: 1-line block ×3, first 2 shown]
	v_mul_f16_e32 v50, 0xb853, v66
	v_fma_f16 v39, v68, 0x36a6, -v39
	v_fmac_f16_e32 v47, 0x3b47, v25
	v_add_f16_e32 v46, v46, v61
	v_mul_f16_e32 v61, 0x3abb, v7
	v_fmamk_f16 v64, v68, 0x3abb, v50
	v_add_f16_e32 v39, v39, v55
	v_add_f16_e32 v47, v47, v60
	v_mul_f16_e32 v55, 0xba0c, v66
	v_fmamk_f16 v60, v25, 0x3853, v61
	v_add_f16_e32 v62, v64, v62
	v_fma_f16 v50, v68, 0x3abb, -v50
	v_fmac_f16_e32 v61, 0xb853, v25
	v_fmamk_f16 v64, v68, 0xb93d, v55
	v_add_f16_e32 v60, v60, v63
	v_mul_f16_e32 v7, 0xb93d, v7
	v_sub_f16_e32 v63, v11, v6
	v_add_f16_e32 v6, v11, v6
	v_add_f16_e32 v50, v50, v51
	v_add_f16_e32 v51, v61, v65
	v_add_f16_e32 v61, v64, v67
	v_fmamk_f16 v64, v25, 0x3a0c, v7
	v_fma_f16 v55, v68, 0xb93d, -v55
	v_add_f16_e32 v11, v8, v35
	v_mul_f16_e32 v65, 0xba0c, v63
	v_fmac_f16_e32 v7, 0xba0c, v25
	v_sub_f16_e32 v8, v8, v35
	v_mul_f16_e32 v25, 0xb93d, v6
	v_add_f16_e32 v35, v64, v42
	v_fmamk_f16 v42, v11, 0xb93d, v65
	v_add_f16_e32 v23, v55, v23
	v_add_f16_e32 v7, v7, v9
	v_fmamk_f16 v9, v8, 0x3a0c, v25
	v_mul_f16_e32 v55, 0x3beb, v63
	v_fmac_f16_e32 v25, 0xba0c, v8
	v_add_f16_e32 v32, v42, v32
	v_fma_f16 v42, v11, 0xb93d, -v65
	v_add_f16_e32 v9, v9, v36
	v_fmamk_f16 v36, v11, 0xb08e, v55
	v_mul_f16_e32 v64, 0xb08e, v6
	v_add_f16_e32 v25, v25, v34
	v_mul_f16_e32 v34, 0xb853, v63
	v_add_f16_e32 v10, v42, v10
	v_add_f16_e32 v36, v36, v37
	v_fmamk_f16 v37, v8, 0xbbeb, v64
	v_fma_f16 v42, v11, 0xb08e, -v55
	v_fmamk_f16 v55, v11, 0x3abb, v34
	v_mul_f16_e32 v65, 0x3abb, v6
	v_fma_f16 v34, v11, 0x3abb, -v34
	v_add_f16_e32 v37, v37, v41
	v_add_f16_e32 v21, v42, v21
	;; [unrolled: 1-line block ×3, first 2 shown]
	v_fmamk_f16 v42, v8, 0x3853, v65
	v_mul_f16_e32 v49, 0xb482, v63
	v_fmac_f16_e32 v65, 0xb853, v8
	v_mul_f16_e32 v55, 0xbbad, v6
	v_add_f16_e32 v34, v34, v39
	v_add_f16_e32 v42, v42, v46
	v_fmamk_f16 v46, v11, 0xbbad, v49
	v_add_f16_e32 v39, v65, v47
	v_fmamk_f16 v47, v8, 0x3482, v55
	v_mul_f16_e32 v63, 0x3b47, v63
	v_fma_f16 v49, v11, 0xbbad, -v49
	v_fmac_f16_e32 v55, 0xb482, v8
	v_mul_f16_e32 v6, 0x36a6, v6
	v_add_f16_e32 v47, v47, v60
	v_fmamk_f16 v60, v11, 0x36a6, v63
	v_add_f16_e32 v49, v49, v50
	v_add_f16_e32 v50, v55, v51
	v_sub_f16_e32 v51, v4, v5
	v_add_f16_e32 v4, v4, v5
	v_fmac_f16_e32 v64, 0x3beb, v8
	v_add_f16_e32 v55, v60, v61
	v_fmamk_f16 v60, v8, 0xbb47, v6
	v_add_f16_e32 v61, v31, v33
	v_mul_f16_e32 v5, 0xb482, v51
	v_fmac_f16_e32 v6, 0x3b47, v8
	v_sub_f16_e32 v8, v31, v33
	v_mul_f16_e32 v31, 0xbbad, v4
	v_fma_f16 v11, v11, 0x36a6, -v63
	v_fmamk_f16 v33, v61, 0xbbad, v5
	v_add_f16_e32 v6, v6, v7
	v_fma_f16 v5, v61, 0xbbad, -v5
	v_fmamk_f16 v7, v8, 0x3482, v31
	v_add_f16_e32 v35, v60, v35
	v_add_f16_e32 v32, v33, v32
	v_mul_f16_e32 v33, 0x3853, v51
	v_add_f16_e32 v11, v11, v23
	v_add_f16_e32 v7, v7, v9
	v_mul_f16_e32 v9, 0x3abb, v4
	v_fmac_f16_e32 v31, 0xb482, v8
	v_fmamk_f16 v60, v61, 0x3abb, v33
	v_add_f16_e32 v23, v5, v10
	v_mul_f16_e32 v5, 0xba0c, v51
	v_fmamk_f16 v10, v8, 0xb853, v9
	v_add_f16_e32 v38, v64, v38
	v_add_f16_e32 v25, v31, v25
	;; [unrolled: 1-line block ×3, first 2 shown]
	v_fma_f16 v33, v61, 0x3abb, -v33
	v_fmac_f16_e32 v9, 0x3853, v8
	v_fmamk_f16 v36, v61, 0xb93d, v5
	v_add_f16_e32 v10, v10, v37
	v_mul_f16_e32 v37, 0xb93d, v4
	v_add_f16_e32 v21, v33, v21
	v_add_f16_e32 v9, v9, v38
	;; [unrolled: 1-line block ×3, first 2 shown]
	v_mul_f16_e32 v36, 0x3b47, v51
	v_fmamk_f16 v38, v8, 0x3a0c, v37
	v_fma_f16 v5, v61, 0xb93d, -v5
	v_fmac_f16_e32 v37, 0xba0c, v8
	v_mul_f16_e32 v41, 0x36a6, v4
	v_add_f16_e32 v46, v46, v62
	v_fmamk_f16 v60, v61, 0x36a6, v36
	v_add_f16_e32 v38, v38, v42
	v_add_f16_e32 v5, v5, v34
	;; [unrolled: 1-line block ×3, first 2 shown]
	v_fmamk_f16 v37, v8, 0xbb47, v41
	v_mul_f16_e32 v42, 0xbbeb, v51
	v_mul_f16_e32 v4, 0xb08e, v4
	v_add_f16_e32 v39, v60, v46
	v_fma_f16 v36, v61, 0x36a6, -v36
	v_add_f16_e32 v37, v37, v47
	v_fmamk_f16 v46, v61, 0xb08e, v42
	v_fmamk_f16 v47, v8, 0x3beb, v4
	v_fmac_f16_e32 v41, 0x3b47, v8
	v_fma_f16 v42, v61, 0xb08e, -v42
	v_fmac_f16_e32 v4, 0xbbeb, v8
	v_pack_b32_f16 v22, v22, v26
	v_pack_b32_f16 v7, v32, v7
	v_add_f16_e32 v46, v46, v55
	v_add_f16_e32 v8, v47, v35
	;; [unrolled: 1-line block ×6, first 2 shown]
	ds_write2_b32 v52, v22, v7 offset1:17
	v_pack_b32_f16 v6, v31, v10
	v_pack_b32_f16 v7, v33, v38
	;; [unrolled: 1-line block ×6, first 2 shown]
	v_add_nc_u32_e32 v31, 0x200, v48
	v_pack_b32_f16 v5, v5, v34
	v_pack_b32_f16 v9, v21, v9
	;; [unrolled: 1-line block ×3, first 2 shown]
	ds_write2_b32 v52, v6, v7 offset0:34 offset1:51
	ds_write2_b32 v52, v10, v8 offset0:68 offset1:85
	;; [unrolled: 1-line block ×4, first 2 shown]
	ds_write_b32 v52, v21 offset:680
	v_add_nc_u32_e32 v6, 0xa00, v48
	s_waitcnt lgkmcnt(0)
	s_barrier
	buffer_gl0_inv
	ds_read2_b32 v[4:5], v48 offset1:85
	ds_read2_b32 v[21:22], v31 offset0:59 offset1:144
	ds_read2_b32 v[10:11], v30 offset0:118 offset1:203
	;; [unrolled: 1-line block ×4, first 2 shown]
	v_add_nc_u32_e32 v26, 0x154, v54
	s_and_saveexec_b32 s1, s0
	s_cbranch_execz .LBB0_19
; %bb.18:
	ds_read2_b32 v[23:24], v31 offset0:42 offset1:229
	ds_read2_b32 v[27:28], v29 offset0:32 offset1:219
	ds_read_b32 v40, v48 offset:3672
	s_waitcnt lgkmcnt(2)
	v_lshrrev_b32_e32 v25, 16, v23
	v_lshrrev_b32_e32 v57, 16, v24
	s_waitcnt lgkmcnt(1)
	v_lshrrev_b32_e32 v59, 16, v27
	v_lshrrev_b32_e32 v58, 16, v28
	s_waitcnt lgkmcnt(0)
	v_lshrrev_b32_e32 v56, 16, v40
.LBB0_19:
	s_or_b32 exec_lo, exec_lo, s1
	s_waitcnt lgkmcnt(3)
	v_lshrrev_b32_e32 v30, 16, v21
	s_waitcnt lgkmcnt(2)
	v_lshrrev_b32_e32 v31, 16, v10
	s_waitcnt lgkmcnt(1)
	v_lshrrev_b32_e32 v32, 16, v8
	s_waitcnt lgkmcnt(0)
	v_lshrrev_b32_e32 v33, 16, v6
	v_mul_f16_sdwa v37, v16, v21 dst_sel:DWORD dst_unused:UNUSED_PAD src0_sel:WORD_1 src1_sel:DWORD
	v_mul_f16_sdwa v36, v16, v30 dst_sel:DWORD dst_unused:UNUSED_PAD src0_sel:WORD_1 src1_sel:DWORD
	v_lshrrev_b32_e32 v38, 16, v11
	v_lshrrev_b32_e32 v35, 16, v22
	v_mul_f16_sdwa v46, v19, v33 dst_sel:DWORD dst_unused:UNUSED_PAD src0_sel:WORD_1 src1_sel:DWORD
	v_mul_f16_sdwa v42, v18, v8 dst_sel:DWORD dst_unused:UNUSED_PAD src0_sel:WORD_1 src1_sel:DWORD
	v_fmac_f16_e32 v36, v16, v21
	v_fma_f16 v16, v16, v30, -v37
	v_mul_f16_sdwa v21, v17, v31 dst_sel:DWORD dst_unused:UNUSED_PAD src0_sel:WORD_1 src1_sel:DWORD
	v_mul_f16_sdwa v30, v17, v10 dst_sel:DWORD dst_unused:UNUSED_PAD src0_sel:WORD_1 src1_sel:DWORD
	;; [unrolled: 1-line block ×3, first 2 shown]
	v_fmac_f16_e32 v46, v19, v6
	v_mul_f16_sdwa v6, v19, v6 dst_sel:DWORD dst_unused:UNUSED_PAD src0_sel:WORD_1 src1_sel:DWORD
	v_fmac_f16_e32 v21, v17, v10
	v_fma_f16 v10, v17, v31, -v30
	v_fmac_f16_e32 v37, v18, v8
	v_mul_f16_sdwa v30, v13, v38 dst_sel:DWORD dst_unused:UNUSED_PAD src0_sel:WORD_1 src1_sel:DWORD
	v_mul_f16_sdwa v31, v13, v11 dst_sel:DWORD dst_unused:UNUSED_PAD src0_sel:WORD_1 src1_sel:DWORD
	v_lshrrev_b32_e32 v39, 16, v9
	v_lshrrev_b32_e32 v41, 16, v7
	v_fma_f16 v8, v18, v32, -v42
	v_mul_f16_sdwa v17, v12, v35 dst_sel:DWORD dst_unused:UNUSED_PAD src0_sel:WORD_1 src1_sel:DWORD
	v_mul_f16_sdwa v18, v12, v22 dst_sel:DWORD dst_unused:UNUSED_PAD src0_sel:WORD_1 src1_sel:DWORD
	v_fma_f16 v6, v19, v33, -v6
	v_fmac_f16_e32 v30, v13, v11
	v_fma_f16 v11, v13, v38, -v31
	v_add_f16_e32 v13, v21, v37
	v_lshrrev_b32_e32 v29, 16, v4
	v_fmac_f16_e32 v17, v12, v22
	v_fma_f16 v12, v12, v35, -v18
	v_mul_f16_sdwa v18, v14, v39 dst_sel:DWORD dst_unused:UNUSED_PAD src0_sel:WORD_1 src1_sel:DWORD
	v_mul_f16_sdwa v19, v14, v9 dst_sel:DWORD dst_unused:UNUSED_PAD src0_sel:WORD_1 src1_sel:DWORD
	;; [unrolled: 1-line block ×3, first 2 shown]
	v_add_f16_e32 v31, v4, v36
	v_fma_f16 v13, -0.5, v13, v4
	v_sub_f16_e32 v32, v16, v6
	v_add_f16_e32 v38, v36, v46
	v_fmac_f16_e32 v18, v14, v9
	v_fma_f16 v9, v14, v39, -v19
	v_fmac_f16_e32 v22, v15, v7
	v_add_f16_e32 v14, v31, v21
	v_fmamk_f16 v19, v32, 0xbb9c, v13
	v_sub_f16_e32 v31, v10, v8
	v_mul_f16_sdwa v7, v15, v7 dst_sel:DWORD dst_unused:UNUSED_PAD src0_sel:WORD_1 src1_sel:DWORD
	v_fma_f16 v4, -0.5, v38, v4
	v_fmac_f16_e32 v13, 0x3b9c, v32
	v_add_f16_e32 v39, v29, v16
	v_sub_f16_e32 v33, v36, v21
	v_sub_f16_e32 v35, v46, v37
	v_fmac_f16_e32 v19, 0xb8b4, v31
	v_fma_f16 v7, v15, v41, -v7
	v_fmamk_f16 v15, v31, 0x3b9c, v4
	v_fmac_f16_e32 v13, 0x38b4, v31
	v_fmac_f16_e32 v4, 0xbb9c, v31
	v_add_f16_e32 v31, v39, v10
	v_add_f16_e32 v33, v33, v35
	v_sub_f16_e32 v35, v21, v36
	v_sub_f16_e32 v38, v37, v46
	v_add_f16_e32 v41, v10, v8
	v_add_f16_e32 v31, v31, v8
	;; [unrolled: 1-line block ×3, first 2 shown]
	v_fmac_f16_e32 v19, 0x34f2, v33
	v_add_f16_e32 v35, v35, v38
	v_fma_f16 v38, -0.5, v41, v29
	v_sub_f16_e32 v36, v36, v46
	v_fmac_f16_e32 v13, 0x34f2, v33
	v_add_f16_e32 v33, v16, v6
	v_sub_f16_e32 v21, v21, v37
	v_sub_f16_e32 v37, v16, v10
	;; [unrolled: 1-line block ×3, first 2 shown]
	v_add_f16_e32 v31, v31, v6
	v_sub_f16_e32 v10, v10, v16
	v_sub_f16_e32 v6, v8, v6
	v_fmac_f16_e32 v15, 0xb8b4, v32
	v_fmac_f16_e32 v4, 0x38b4, v32
	v_fmamk_f16 v32, v36, 0x3b9c, v38
	v_fmac_f16_e32 v29, -0.5, v33
	v_fmac_f16_e32 v38, 0xbb9c, v36
	v_add_f16_e32 v8, v30, v18
	v_add_f16_e32 v6, v10, v6
	;; [unrolled: 1-line block ×3, first 2 shown]
	v_lshrrev_b32_e32 v34, 16, v5
	v_fmac_f16_e32 v15, 0x34f2, v35
	v_fmac_f16_e32 v4, 0x34f2, v35
	v_fmac_f16_e32 v32, 0x38b4, v21
	v_add_f16_e32 v33, v37, v39
	v_fmamk_f16 v35, v21, 0xbb9c, v29
	v_fmac_f16_e32 v38, 0xb8b4, v21
	v_fma_f16 v8, -0.5, v8, v5
	v_sub_f16_e32 v16, v12, v7
	v_fmac_f16_e32 v29, 0x3b9c, v21
	v_add_f16_e32 v10, v10, v30
	v_add_f16_e32 v41, v17, v22
	v_fmac_f16_e32 v32, 0x34f2, v33
	v_fmac_f16_e32 v35, 0x38b4, v36
	;; [unrolled: 1-line block ×3, first 2 shown]
	v_fmamk_f16 v21, v16, 0xbb9c, v8
	v_sub_f16_e32 v33, v11, v9
	v_fmac_f16_e32 v29, 0xb8b4, v36
	v_add_f16_e32 v10, v10, v18
	v_fmac_f16_e32 v5, -0.5, v41
	v_fmac_f16_e32 v8, 0x3b9c, v16
	v_add_f16_e32 v41, v34, v12
	v_fmac_f16_e32 v35, 0x34f2, v6
	v_sub_f16_e32 v37, v17, v30
	v_sub_f16_e32 v39, v22, v18
	v_fmac_f16_e32 v21, 0xb8b4, v33
	v_fmac_f16_e32 v29, 0x34f2, v6
	v_add_f16_e32 v6, v10, v22
	v_fmamk_f16 v10, v33, 0x3b9c, v5
	v_fmac_f16_e32 v8, 0x38b4, v33
	v_fmac_f16_e32 v5, 0xbb9c, v33
	v_add_f16_e32 v33, v41, v11
	v_add_f16_e32 v36, v37, v39
	v_sub_f16_e32 v37, v30, v17
	v_sub_f16_e32 v39, v18, v22
	v_add_f16_e32 v42, v11, v9
	v_fmac_f16_e32 v10, 0xb8b4, v16
	v_fmac_f16_e32 v5, 0x38b4, v16
	v_add_f16_e32 v16, v33, v9
	v_add_f16_e32 v33, v12, v7
	;; [unrolled: 1-line block ×3, first 2 shown]
	v_fma_f16 v39, -0.5, v42, v34
	v_sub_f16_e32 v17, v17, v22
	v_sub_f16_e32 v18, v30, v18
	v_fmac_f16_e32 v34, -0.5, v33
	v_fmac_f16_e32 v21, 0x34f2, v36
	v_fmac_f16_e32 v8, 0x34f2, v36
	v_fmamk_f16 v22, v17, 0x3b9c, v39
	v_sub_f16_e32 v30, v12, v11
	v_sub_f16_e32 v36, v7, v9
	v_add_f16_e32 v16, v16, v7
	v_fmamk_f16 v33, v18, 0xbb9c, v34
	v_sub_f16_e32 v11, v11, v12
	v_sub_f16_e32 v7, v9, v7
	v_fmac_f16_e32 v39, 0xbb9c, v17
	v_fmac_f16_e32 v34, 0x3b9c, v18
	;; [unrolled: 1-line block ×3, first 2 shown]
	v_add_f16_e32 v30, v30, v36
	v_fmac_f16_e32 v33, 0x38b4, v17
	v_add_f16_e32 v7, v11, v7
	v_fmac_f16_e32 v39, 0xb8b4, v18
	v_fmac_f16_e32 v34, 0xb8b4, v17
	v_pack_b32_f16 v9, v19, v32
	v_pack_b32_f16 v11, v15, v35
	v_add_nc_u32_e32 v12, 0x200, v53
	v_add_f16_e32 v14, v14, v46
	v_fmac_f16_e32 v10, 0x34f2, v37
	v_fmac_f16_e32 v22, 0x34f2, v30
	;; [unrolled: 1-line block ×6, first 2 shown]
	ds_write2_b32 v12, v9, v11 offset0:59 offset1:246
	v_pack_b32_f16 v9, v4, v29
	v_pack_b32_f16 v11, v13, v38
	v_add_nc_u32_e32 v12, 0x800, v53
	v_lshl_add_u32 v4, v45, 2, v43
	v_pack_b32_f16 v7, v14, v31
	v_pack_b32_f16 v6, v6, v16
	;; [unrolled: 1-line block ×4, first 2 shown]
	v_add_nc_u32_e32 v14, 0x200, v26
	v_pack_b32_f16 v5, v5, v34
	v_pack_b32_f16 v8, v8, v39
	v_add_nc_u32_e32 v15, 0x800, v26
	ds_write2_b32 v12, v9, v11 offset0:49 offset1:236
	ds_write2_b32 v53, v7, v6 offset1:85
	ds_write2_b32 v14, v13, v10 offset0:59 offset1:246
	ds_write2_b32 v15, v5, v8 offset0:49 offset1:236
	s_and_saveexec_b32 s1, s0
	s_cbranch_execz .LBB0_21
; %bb.20:
	v_mul_f16_sdwa v5, v1, v27 dst_sel:DWORD dst_unused:UNUSED_PAD src0_sel:WORD_1 src1_sel:DWORD
	v_mul_f16_sdwa v6, v0, v24 dst_sel:DWORD dst_unused:UNUSED_PAD src0_sel:WORD_1 src1_sel:DWORD
	;; [unrolled: 1-line block ×5, first 2 shown]
	v_fma_f16 v5, v1, v59, -v5
	v_fma_f16 v6, v0, v57, -v6
	v_mul_f16_sdwa v9, v1, v59 dst_sel:DWORD dst_unused:UNUSED_PAD src0_sel:WORD_1 src1_sel:DWORD
	v_fma_f16 v8, v3, v56, -v8
	v_fma_f16 v7, v2, v58, -v7
	v_fmac_f16_e32 v10, v2, v28
	v_mul_f16_sdwa v2, v0, v57 dst_sel:DWORD dst_unused:UNUSED_PAD src0_sel:WORD_1 src1_sel:DWORD
	v_mul_f16_sdwa v12, v3, v56 dst_sel:DWORD dst_unused:UNUSED_PAD src0_sel:WORD_1 src1_sel:DWORD
	v_sub_f16_e32 v11, v5, v6
	v_fmac_f16_e32 v9, v1, v27
	v_add_f16_e32 v1, v6, v8
	v_sub_f16_e32 v13, v7, v8
	v_fmac_f16_e32 v2, v0, v24
	v_fmac_f16_e32 v12, v3, v40
	v_add_f16_e32 v0, v5, v7
	v_sub_f16_e32 v14, v9, v10
	v_fma_f16 v1, -0.5, v1, v25
	v_add_f16_e32 v3, v11, v13
	v_sub_f16_e32 v13, v2, v12
	v_fma_f16 v0, -0.5, v0, v25
	v_sub_f16_e32 v15, v6, v5
	v_fmamk_f16 v11, v14, 0x3b9c, v1
	v_fmac_f16_e32 v1, 0xbb9c, v14
	v_sub_f16_e32 v16, v8, v7
	v_fmamk_f16 v17, v13, 0xbb9c, v0
	v_add_f16_e32 v18, v25, v6
	v_fmac_f16_e32 v0, 0x3b9c, v13
	v_fmac_f16_e32 v11, 0xb8b4, v13
	;; [unrolled: 1-line block ×3, first 2 shown]
	v_add_f16_e32 v15, v15, v16
	v_fmac_f16_e32 v17, 0xb8b4, v14
	v_add_f16_e32 v13, v18, v5
	v_fmac_f16_e32 v0, 0x38b4, v14
	v_fmac_f16_e32 v11, 0x34f2, v3
	v_fmac_f16_e32 v1, 0x34f2, v3
	v_fmac_f16_e32 v17, 0x34f2, v15
	v_add_f16_e32 v3, v13, v7
	v_sub_f16_e32 v13, v9, v2
	v_sub_f16_e32 v14, v10, v12
	v_fmac_f16_e32 v0, 0x34f2, v15
	v_add_f16_e32 v15, v2, v12
	v_add_f16_e32 v16, v9, v10
	;; [unrolled: 1-line block ×4, first 2 shown]
	v_sub_f16_e32 v6, v6, v8
	v_fma_f16 v8, -0.5, v15, v23
	v_fma_f16 v14, -0.5, v16, v23
	v_add_f16_e32 v15, v23, v2
	v_sub_f16_e32 v5, v5, v7
	v_sub_f16_e32 v2, v2, v9
	;; [unrolled: 1-line block ×3, first 2 shown]
	v_fmamk_f16 v16, v6, 0x3b9c, v14
	v_add_f16_e32 v9, v15, v9
	v_fmac_f16_e32 v14, 0xbb9c, v6
	v_fmamk_f16 v15, v5, 0xbb9c, v8
	v_fmac_f16_e32 v8, 0x3b9c, v5
	v_add_f16_e32 v2, v2, v7
	v_add_f16_e32 v7, v9, v10
	v_fmac_f16_e32 v14, 0xb8b4, v5
	v_fmac_f16_e32 v15, 0x38b4, v6
	;; [unrolled: 1-line block ×4, first 2 shown]
	v_add_f16_e32 v5, v7, v12
	v_fmac_f16_e32 v14, 0x34f2, v2
	v_fmac_f16_e32 v15, 0x34f2, v13
	;; [unrolled: 1-line block ×4, first 2 shown]
	v_pack_b32_f16 v2, v5, v3
	v_pack_b32_f16 v0, v14, v0
	v_add_nc_u32_e32 v3, 0x200, v4
	v_pack_b32_f16 v1, v8, v1
	v_pack_b32_f16 v5, v15, v11
	v_add_nc_u32_e32 v6, 0x800, v4
	v_pack_b32_f16 v7, v16, v17
	ds_write2_b32 v3, v2, v0 offset0:42 offset1:229
	ds_write2_b32 v6, v1, v5 offset0:32 offset1:219
	ds_write_b32 v4, v7 offset:3672
.LBB0_21:
	s_or_b32 exec_lo, exec_lo, s1
	s_waitcnt lgkmcnt(0)
	s_barrier
	buffer_gl0_inv
	s_and_b32 exec_lo, exec_lo, vcc_lo
	s_cbranch_execz .LBB0_23
; %bb.22:
	global_load_dword v0, v43, s[8:9]
	ds_read_b32 v1, v53
	s_mov_b32 s12, 0xfa401186
	s_mov_b32 s13, 0x3f5185e2
	v_mad_u64_u32 v[7:8], null, s4, v44, 0
	s_mul_hi_u32 s3, s4, 0xdc
	s_mulk_i32 s4, 0xdc
	s_waitcnt lgkmcnt(0)
	v_lshrrev_b32_e32 v2, 16, v1
	s_waitcnt vmcnt(0)
	v_mul_f16_sdwa v3, v2, v0 dst_sel:DWORD dst_unused:UNUSED_PAD src0_sel:DWORD src1_sel:WORD_1
	v_mul_f16_sdwa v5, v1, v0 dst_sel:DWORD dst_unused:UNUSED_PAD src0_sel:DWORD src1_sel:WORD_1
	v_fmac_f16_e32 v3, v1, v0
	v_fma_f16 v0, v0, v2, -v5
	v_mad_u64_u32 v[5:6], null, s6, v20, 0
	v_cvt_f32_f16_e32 v1, v3
	v_cvt_f32_f16_e32 v2, v0
	v_cvt_f64_f32_e32 v[0:1], v1
	v_cvt_f64_f32_e32 v[2:3], v2
	v_mul_f64 v[0:1], v[0:1], s[12:13]
	v_mul_f64 v[2:3], v[2:3], s[12:13]
	v_and_or_b32 v0, 0x1ff, v1, v0
	v_and_or_b32 v2, 0x1ff, v3, v2
	v_lshrrev_b32_e32 v9, 8, v1
	v_bfe_u32 v11, v1, 20, 11
	v_lshrrev_b32_e32 v10, 8, v3
	v_cmp_ne_u32_e32 vcc_lo, 0, v0
	v_bfe_u32 v12, v3, 20, 11
	v_mov_b32_e32 v0, v8
	v_sub_nc_u32_e32 v14, 0x3f1, v11
	v_add_nc_u32_e32 v11, 0xfffffc10, v11
	v_cndmask_b32_e64 v13, 0, 1, vcc_lo
	v_cmp_ne_u32_e32 vcc_lo, 0, v2
	v_sub_nc_u32_e32 v15, 0x3f1, v12
	v_med3_i32 v14, v14, 0, 13
	v_add_nc_u32_e32 v12, 0xfffffc10, v12
	v_and_or_b32 v13, 0xffe, v9, v13
	v_cndmask_b32_e64 v2, 0, 1, vcc_lo
	v_mad_u64_u32 v[8:9], null, s7, v20, v[6:7]
	v_med3_i32 v15, v15, 0, 13
	v_or_b32_e32 v16, 0x1000, v13
	v_and_or_b32 v2, 0xffe, v10, v2
	v_mad_u64_u32 v[9:10], null, s5, v44, v[0:1]
	v_lshrrev_b32_e32 v3, 16, v3
	v_lshrrev_b32_e32 v0, v14, v16
	v_or_b32_e32 v17, 0x1000, v2
	v_mov_b32_e32 v6, v8
	v_mov_b32_e32 v8, v9
	v_lshrrev_b32_e32 v10, v15, v17
	v_lshlrev_b32_e32 v14, v14, v0
	v_lshlrev_b64 v[5:6], 2, v[5:6]
	v_lshlrev_b32_e32 v9, v15, v10
	v_cmp_ne_u32_e32 vcc_lo, v14, v16
	v_lshl_or_b32 v15, v11, 12, v13
	v_cndmask_b32_e64 v14, 0, 1, vcc_lo
	v_cmp_ne_u32_e32 vcc_lo, v9, v17
	v_or_b32_e32 v0, v0, v14
	v_cndmask_b32_e64 v9, 0, 1, vcc_lo
	v_cmp_gt_i32_e32 vcc_lo, 1, v11
	v_lshl_or_b32 v14, v12, 12, v2
	v_or_b32_e32 v9, v10, v9
	v_cndmask_b32_e32 v0, v15, v0, vcc_lo
	v_cmp_gt_i32_e32 vcc_lo, 1, v12
	v_lshrrev_b32_e32 v10, 16, v1
	v_cndmask_b32_e32 v1, v14, v9, vcc_lo
	v_cmp_ne_u32_e32 vcc_lo, 0, v13
	v_and_b32_e32 v13, 7, v0
	v_lshrrev_b32_e32 v0, 2, v0
	v_and_b32_e32 v14, 7, v1
	v_cndmask_b32_e64 v9, 0, 1, vcc_lo
	v_cmp_ne_u32_e32 vcc_lo, 0, v2
	v_cmp_eq_u32_e64 s0, 3, v13
	v_lshrrev_b32_e32 v1, 2, v1
	v_cmp_lt_i32_e64 s1, 5, v14
	v_cmp_eq_u32_e64 s2, 3, v14
	v_cndmask_b32_e64 v2, 0, 1, vcc_lo
	v_cmp_lt_i32_e32 vcc_lo, 5, v13
	v_lshl_or_b32 v9, v9, 9, 0x7c00
	v_lshl_or_b32 v2, v2, 9, 0x7c00
	s_or_b32 vcc_lo, s0, vcc_lo
	v_add_co_ci_u32_e32 v0, vcc_lo, 0, v0, vcc_lo
	s_or_b32 vcc_lo, s2, s1
	v_add_co_ci_u32_e32 v1, vcc_lo, 0, v1, vcc_lo
	v_cmp_gt_i32_e32 vcc_lo, 31, v11
	v_cndmask_b32_e32 v0, 0x7c00, v0, vcc_lo
	v_cmp_gt_i32_e32 vcc_lo, 31, v12
	v_cndmask_b32_e32 v13, 0x7c00, v1, vcc_lo
	v_cmp_eq_u32_e32 vcc_lo, 0x40f, v11
	v_cndmask_b32_e32 v9, v0, v9, vcc_lo
	v_cmp_eq_u32_e32 vcc_lo, 0x40f, v12
	v_lshlrev_b64 v[0:1], 2, v[7:8]
	v_and_or_b32 v7, 0x8000, v10, v9
	v_cndmask_b32_e32 v2, v13, v2, vcc_lo
	v_add_co_u32 v5, vcc_lo, s10, v5
	v_add_co_ci_u32_e32 v6, vcc_lo, s11, v6, vcc_lo
	v_and_or_b32 v2, 0x8000, v3, v2
	v_and_b32_e32 v3, 0xffff, v7
	v_add_co_u32 v0, vcc_lo, v5, v0
	v_add_co_ci_u32_e32 v1, vcc_lo, v6, v1, vcc_lo
	v_lshl_or_b32 v2, v2, 16, v3
	global_store_dword v[0:1], v2, off
	global_load_dword v5, v43, s[8:9] offset:220
	ds_read2_b32 v[2:3], v4 offset0:55 offset1:110
	s_waitcnt lgkmcnt(0)
	v_lshrrev_b32_e32 v6, 16, v2
	s_waitcnt vmcnt(0)
	v_mul_f16_sdwa v7, v6, v5 dst_sel:DWORD dst_unused:UNUSED_PAD src0_sel:DWORD src1_sel:WORD_1
	v_mul_f16_sdwa v8, v2, v5 dst_sel:DWORD dst_unused:UNUSED_PAD src0_sel:DWORD src1_sel:WORD_1
	v_fmac_f16_e32 v7, v2, v5
	v_fma_f16 v2, v5, v6, -v8
	v_cvt_f32_f16_e32 v5, v7
	v_cvt_f32_f16_e32 v2, v2
	v_cvt_f64_f32_e32 v[5:6], v5
	v_cvt_f64_f32_e32 v[7:8], v2
	v_mul_f64 v[5:6], v[5:6], s[12:13]
	v_mul_f64 v[7:8], v[7:8], s[12:13]
	v_and_or_b32 v2, 0x1ff, v6, v5
	v_and_or_b32 v7, 0x1ff, v8, v7
	v_lshrrev_b32_e32 v5, 8, v6
	v_bfe_u32 v9, v6, 20, 11
	v_lshrrev_b32_e32 v10, 8, v8
	v_cmp_ne_u32_e32 vcc_lo, 0, v2
	v_bfe_u32 v11, v8, 20, 11
	v_lshrrev_b32_e32 v6, 16, v6
	v_sub_nc_u32_e32 v12, 0x3f1, v9
	v_add_nc_u32_e32 v9, 0xfffffc10, v9
	v_cndmask_b32_e64 v2, 0, 1, vcc_lo
	v_cmp_ne_u32_e32 vcc_lo, 0, v7
	v_lshrrev_b32_e32 v8, 16, v8
	v_and_or_b32 v2, 0xffe, v5, v2
	v_cndmask_b32_e64 v7, 0, 1, vcc_lo
	v_sub_nc_u32_e32 v5, 0x3f1, v11
	v_add_nc_u32_e32 v11, 0xfffffc10, v11
	v_and_or_b32 v7, 0xffe, v10, v7
	v_med3_i32 v10, v12, 0, 13
	v_or_b32_e32 v12, 0x1000, v2
	v_med3_i32 v5, v5, 0, 13
	v_or_b32_e32 v13, 0x1000, v7
	v_lshrrev_b32_e32 v14, v10, v12
	v_lshrrev_b32_e32 v15, v5, v13
	v_lshlrev_b32_e32 v10, v10, v14
	v_lshlrev_b32_e32 v5, v5, v15
	v_cmp_ne_u32_e32 vcc_lo, v10, v12
	v_lshl_or_b32 v12, v9, 12, v2
	v_cndmask_b32_e64 v10, 0, 1, vcc_lo
	v_cmp_ne_u32_e32 vcc_lo, v5, v13
	v_lshl_or_b32 v13, v11, 12, v7
	v_or_b32_e32 v10, v14, v10
	v_cndmask_b32_e64 v5, 0, 1, vcc_lo
	v_cmp_gt_i32_e32 vcc_lo, 1, v9
	v_or_b32_e32 v5, v15, v5
	v_cndmask_b32_e32 v10, v12, v10, vcc_lo
	v_cmp_gt_i32_e32 vcc_lo, 1, v11
	v_and_b32_e32 v12, 7, v10
	v_cndmask_b32_e32 v5, v13, v5, vcc_lo
	v_cmp_ne_u32_e32 vcc_lo, 0, v2
	v_lshrrev_b32_e32 v10, 2, v10
	v_cmp_eq_u32_e64 s0, 3, v12
	v_and_b32_e32 v13, 7, v5
	v_cndmask_b32_e64 v2, 0, 1, vcc_lo
	v_cmp_ne_u32_e32 vcc_lo, 0, v7
	v_lshrrev_b32_e32 v5, 2, v5
	v_cmp_lt_i32_e64 s1, 5, v13
	v_cmp_eq_u32_e64 s2, 3, v13
	v_cndmask_b32_e64 v7, 0, 1, vcc_lo
	v_cmp_lt_i32_e32 vcc_lo, 5, v12
	v_lshl_or_b32 v2, v2, 9, 0x7c00
	v_lshl_or_b32 v7, v7, 9, 0x7c00
	s_or_b32 vcc_lo, s0, vcc_lo
	s_mul_i32 s0, s5, 0xdc
	v_add_co_ci_u32_e32 v10, vcc_lo, 0, v10, vcc_lo
	s_or_b32 vcc_lo, s2, s1
	s_add_i32 s3, s3, s0
	v_add_co_ci_u32_e32 v5, vcc_lo, 0, v5, vcc_lo
	v_cmp_gt_i32_e32 vcc_lo, 31, v9
	v_cndmask_b32_e32 v10, 0x7c00, v10, vcc_lo
	v_cmp_gt_i32_e32 vcc_lo, 31, v11
	v_cndmask_b32_e32 v5, 0x7c00, v5, vcc_lo
	v_cmp_eq_u32_e32 vcc_lo, 0x40f, v9
	v_cndmask_b32_e32 v2, v10, v2, vcc_lo
	v_cmp_eq_u32_e32 vcc_lo, 0x40f, v11
	v_and_or_b32 v2, 0x8000, v6, v2
	v_cndmask_b32_e32 v5, v5, v7, vcc_lo
	v_add_co_u32 v0, vcc_lo, v0, s4
	v_add_co_ci_u32_e32 v1, vcc_lo, s3, v1, vcc_lo
	v_and_or_b32 v5, 0x8000, v8, v5
	v_and_b32_e32 v2, 0xffff, v2
	v_lshl_or_b32 v2, v5, 16, v2
	v_lshrrev_b32_e32 v5, 16, v3
	global_store_dword v[0:1], v2, off
	global_load_dword v2, v43, s[8:9] offset:440
	s_waitcnt vmcnt(0)
	v_mul_f16_sdwa v6, v5, v2 dst_sel:DWORD dst_unused:UNUSED_PAD src0_sel:DWORD src1_sel:WORD_1
	v_mul_f16_sdwa v7, v3, v2 dst_sel:DWORD dst_unused:UNUSED_PAD src0_sel:DWORD src1_sel:WORD_1
	v_fmac_f16_e32 v6, v3, v2
	v_fma_f16 v2, v2, v5, -v7
	v_cvt_f32_f16_e32 v3, v6
	v_cvt_f32_f16_e32 v5, v2
	v_cvt_f64_f32_e32 v[2:3], v3
	v_cvt_f64_f32_e32 v[5:6], v5
	v_mul_f64 v[2:3], v[2:3], s[12:13]
	v_mul_f64 v[5:6], v[5:6], s[12:13]
	v_and_or_b32 v2, 0x1ff, v3, v2
	v_and_or_b32 v5, 0x1ff, v6, v5
	v_lshrrev_b32_e32 v7, 8, v3
	v_bfe_u32 v8, v3, 20, 11
	v_lshrrev_b32_e32 v9, 8, v6
	v_cmp_ne_u32_e32 vcc_lo, 0, v2
	v_bfe_u32 v10, v6, 20, 11
	v_lshrrev_b32_e32 v3, 16, v3
	v_sub_nc_u32_e32 v11, 0x3f1, v8
	v_add_nc_u32_e32 v8, 0xfffffc10, v8
	v_cndmask_b32_e64 v2, 0, 1, vcc_lo
	v_cmp_ne_u32_e32 vcc_lo, 0, v5
	v_lshrrev_b32_e32 v6, 16, v6
	v_and_or_b32 v2, 0xffe, v7, v2
	v_cndmask_b32_e64 v5, 0, 1, vcc_lo
	v_sub_nc_u32_e32 v7, 0x3f1, v10
	v_add_nc_u32_e32 v10, 0xfffffc10, v10
	v_and_or_b32 v5, 0xffe, v9, v5
	v_med3_i32 v9, v11, 0, 13
	v_or_b32_e32 v11, 0x1000, v2
	v_med3_i32 v7, v7, 0, 13
	v_or_b32_e32 v12, 0x1000, v5
	v_lshrrev_b32_e32 v13, v9, v11
	v_lshrrev_b32_e32 v14, v7, v12
	v_lshlrev_b32_e32 v9, v9, v13
	v_lshlrev_b32_e32 v7, v7, v14
	v_cmp_ne_u32_e32 vcc_lo, v9, v11
	v_lshl_or_b32 v11, v8, 12, v2
	v_cndmask_b32_e64 v9, 0, 1, vcc_lo
	v_cmp_ne_u32_e32 vcc_lo, v7, v12
	v_lshl_or_b32 v12, v10, 12, v5
	v_or_b32_e32 v9, v13, v9
	v_cndmask_b32_e64 v7, 0, 1, vcc_lo
	v_cmp_gt_i32_e32 vcc_lo, 1, v8
	v_or_b32_e32 v7, v14, v7
	v_cndmask_b32_e32 v9, v11, v9, vcc_lo
	v_cmp_gt_i32_e32 vcc_lo, 1, v10
	v_and_b32_e32 v11, 7, v9
	v_cndmask_b32_e32 v7, v12, v7, vcc_lo
	v_cmp_ne_u32_e32 vcc_lo, 0, v2
	v_lshrrev_b32_e32 v9, 2, v9
	v_cmp_eq_u32_e64 s0, 3, v11
	v_and_b32_e32 v12, 7, v7
	v_cndmask_b32_e64 v2, 0, 1, vcc_lo
	v_cmp_ne_u32_e32 vcc_lo, 0, v5
	v_lshrrev_b32_e32 v7, 2, v7
	v_cmp_lt_i32_e64 s1, 5, v12
	v_cmp_eq_u32_e64 s2, 3, v12
	v_cndmask_b32_e64 v5, 0, 1, vcc_lo
	v_cmp_lt_i32_e32 vcc_lo, 5, v11
	v_lshl_or_b32 v2, v2, 9, 0x7c00
	v_lshl_or_b32 v5, v5, 9, 0x7c00
	s_or_b32 vcc_lo, s0, vcc_lo
	v_add_co_ci_u32_e32 v9, vcc_lo, 0, v9, vcc_lo
	s_or_b32 vcc_lo, s2, s1
	v_add_co_ci_u32_e32 v7, vcc_lo, 0, v7, vcc_lo
	v_cmp_gt_i32_e32 vcc_lo, 31, v8
	v_cndmask_b32_e32 v9, 0x7c00, v9, vcc_lo
	v_cmp_gt_i32_e32 vcc_lo, 31, v10
	v_cndmask_b32_e32 v7, 0x7c00, v7, vcc_lo
	v_cmp_eq_u32_e32 vcc_lo, 0x40f, v8
	v_cndmask_b32_e32 v2, v9, v2, vcc_lo
	v_cmp_eq_u32_e32 vcc_lo, 0x40f, v10
	v_and_or_b32 v2, 0x8000, v3, v2
	v_cndmask_b32_e32 v5, v7, v5, vcc_lo
	v_add_co_u32 v0, vcc_lo, v0, s4
	v_add_co_ci_u32_e32 v1, vcc_lo, s3, v1, vcc_lo
	v_and_or_b32 v3, 0x8000, v6, v5
	v_and_b32_e32 v2, 0xffff, v2
	v_lshl_or_b32 v2, v3, 16, v2
	global_store_dword v[0:1], v2, off
	global_load_dword v5, v43, s[8:9] offset:660
	ds_read2_b32 v[2:3], v4 offset0:165 offset1:220
	s_waitcnt lgkmcnt(0)
	v_lshrrev_b32_e32 v6, 16, v2
	s_waitcnt vmcnt(0)
	v_mul_f16_sdwa v7, v6, v5 dst_sel:DWORD dst_unused:UNUSED_PAD src0_sel:DWORD src1_sel:WORD_1
	v_mul_f16_sdwa v8, v2, v5 dst_sel:DWORD dst_unused:UNUSED_PAD src0_sel:DWORD src1_sel:WORD_1
	v_fmac_f16_e32 v7, v2, v5
	v_fma_f16 v2, v5, v6, -v8
	v_cvt_f32_f16_e32 v5, v7
	v_cvt_f32_f16_e32 v2, v2
	v_cvt_f64_f32_e32 v[5:6], v5
	v_cvt_f64_f32_e32 v[7:8], v2
	v_mul_f64 v[5:6], v[5:6], s[12:13]
	v_mul_f64 v[7:8], v[7:8], s[12:13]
	v_and_or_b32 v2, 0x1ff, v6, v5
	v_and_or_b32 v7, 0x1ff, v8, v7
	v_lshrrev_b32_e32 v5, 8, v6
	v_bfe_u32 v9, v6, 20, 11
	v_lshrrev_b32_e32 v10, 8, v8
	v_cmp_ne_u32_e32 vcc_lo, 0, v2
	v_bfe_u32 v11, v8, 20, 11
	v_lshrrev_b32_e32 v6, 16, v6
	v_sub_nc_u32_e32 v12, 0x3f1, v9
	v_add_nc_u32_e32 v9, 0xfffffc10, v9
	v_cndmask_b32_e64 v2, 0, 1, vcc_lo
	v_cmp_ne_u32_e32 vcc_lo, 0, v7
	v_lshrrev_b32_e32 v8, 16, v8
	v_and_or_b32 v2, 0xffe, v5, v2
	v_cndmask_b32_e64 v7, 0, 1, vcc_lo
	v_sub_nc_u32_e32 v5, 0x3f1, v11
	v_add_nc_u32_e32 v11, 0xfffffc10, v11
	v_and_or_b32 v7, 0xffe, v10, v7
	v_med3_i32 v10, v12, 0, 13
	v_or_b32_e32 v12, 0x1000, v2
	v_med3_i32 v5, v5, 0, 13
	v_or_b32_e32 v13, 0x1000, v7
	v_lshrrev_b32_e32 v14, v10, v12
	v_lshrrev_b32_e32 v15, v5, v13
	v_lshlrev_b32_e32 v10, v10, v14
	v_lshlrev_b32_e32 v5, v5, v15
	v_cmp_ne_u32_e32 vcc_lo, v10, v12
	v_lshl_or_b32 v12, v9, 12, v2
	v_cndmask_b32_e64 v10, 0, 1, vcc_lo
	v_cmp_ne_u32_e32 vcc_lo, v5, v13
	v_lshl_or_b32 v13, v11, 12, v7
	v_or_b32_e32 v10, v14, v10
	v_cndmask_b32_e64 v5, 0, 1, vcc_lo
	v_cmp_gt_i32_e32 vcc_lo, 1, v9
	v_or_b32_e32 v5, v15, v5
	v_cndmask_b32_e32 v10, v12, v10, vcc_lo
	v_cmp_gt_i32_e32 vcc_lo, 1, v11
	v_and_b32_e32 v12, 7, v10
	v_cndmask_b32_e32 v5, v13, v5, vcc_lo
	v_cmp_ne_u32_e32 vcc_lo, 0, v2
	v_lshrrev_b32_e32 v10, 2, v10
	v_cmp_eq_u32_e64 s0, 3, v12
	v_and_b32_e32 v13, 7, v5
	v_cndmask_b32_e64 v2, 0, 1, vcc_lo
	v_cmp_ne_u32_e32 vcc_lo, 0, v7
	v_lshrrev_b32_e32 v5, 2, v5
	v_cmp_lt_i32_e64 s1, 5, v13
	v_cmp_eq_u32_e64 s2, 3, v13
	v_cndmask_b32_e64 v7, 0, 1, vcc_lo
	v_cmp_lt_i32_e32 vcc_lo, 5, v12
	v_lshl_or_b32 v2, v2, 9, 0x7c00
	v_lshl_or_b32 v7, v7, 9, 0x7c00
	s_or_b32 vcc_lo, s0, vcc_lo
	v_add_co_ci_u32_e32 v10, vcc_lo, 0, v10, vcc_lo
	s_or_b32 vcc_lo, s2, s1
	v_add_co_ci_u32_e32 v5, vcc_lo, 0, v5, vcc_lo
	v_cmp_gt_i32_e32 vcc_lo, 31, v9
	v_cndmask_b32_e32 v10, 0x7c00, v10, vcc_lo
	v_cmp_gt_i32_e32 vcc_lo, 31, v11
	v_cndmask_b32_e32 v5, 0x7c00, v5, vcc_lo
	v_cmp_eq_u32_e32 vcc_lo, 0x40f, v9
	v_cndmask_b32_e32 v2, v10, v2, vcc_lo
	v_cmp_eq_u32_e32 vcc_lo, 0x40f, v11
	v_and_or_b32 v2, 0x8000, v6, v2
	v_cndmask_b32_e32 v5, v5, v7, vcc_lo
	v_add_co_u32 v0, vcc_lo, v0, s4
	v_add_co_ci_u32_e32 v1, vcc_lo, s3, v1, vcc_lo
	v_and_or_b32 v5, 0x8000, v8, v5
	v_and_b32_e32 v2, 0xffff, v2
	v_lshl_or_b32 v2, v5, 16, v2
	v_lshrrev_b32_e32 v5, 16, v3
	global_store_dword v[0:1], v2, off
	global_load_dword v2, v43, s[8:9] offset:880
	s_waitcnt vmcnt(0)
	v_mul_f16_sdwa v6, v5, v2 dst_sel:DWORD dst_unused:UNUSED_PAD src0_sel:DWORD src1_sel:WORD_1
	v_mul_f16_sdwa v7, v3, v2 dst_sel:DWORD dst_unused:UNUSED_PAD src0_sel:DWORD src1_sel:WORD_1
	v_fmac_f16_e32 v6, v3, v2
	v_fma_f16 v2, v2, v5, -v7
	v_cvt_f32_f16_e32 v3, v6
	v_cvt_f32_f16_e32 v5, v2
	v_cvt_f64_f32_e32 v[2:3], v3
	v_cvt_f64_f32_e32 v[5:6], v5
	v_mul_f64 v[2:3], v[2:3], s[12:13]
	v_mul_f64 v[5:6], v[5:6], s[12:13]
	v_and_or_b32 v2, 0x1ff, v3, v2
	v_and_or_b32 v5, 0x1ff, v6, v5
	v_lshrrev_b32_e32 v7, 8, v3
	v_bfe_u32 v8, v3, 20, 11
	v_lshrrev_b32_e32 v9, 8, v6
	v_cmp_ne_u32_e32 vcc_lo, 0, v2
	v_bfe_u32 v10, v6, 20, 11
	v_lshrrev_b32_e32 v3, 16, v3
	v_sub_nc_u32_e32 v11, 0x3f1, v8
	v_add_nc_u32_e32 v8, 0xfffffc10, v8
	v_cndmask_b32_e64 v2, 0, 1, vcc_lo
	v_cmp_ne_u32_e32 vcc_lo, 0, v5
	v_lshrrev_b32_e32 v6, 16, v6
	v_and_or_b32 v2, 0xffe, v7, v2
	v_cndmask_b32_e64 v5, 0, 1, vcc_lo
	v_sub_nc_u32_e32 v7, 0x3f1, v10
	v_add_nc_u32_e32 v10, 0xfffffc10, v10
	v_and_or_b32 v5, 0xffe, v9, v5
	v_med3_i32 v9, v11, 0, 13
	v_or_b32_e32 v11, 0x1000, v2
	v_med3_i32 v7, v7, 0, 13
	v_or_b32_e32 v12, 0x1000, v5
	v_lshrrev_b32_e32 v13, v9, v11
	v_lshrrev_b32_e32 v14, v7, v12
	v_lshlrev_b32_e32 v9, v9, v13
	v_lshlrev_b32_e32 v7, v7, v14
	v_cmp_ne_u32_e32 vcc_lo, v9, v11
	v_lshl_or_b32 v11, v8, 12, v2
	v_cndmask_b32_e64 v9, 0, 1, vcc_lo
	v_cmp_ne_u32_e32 vcc_lo, v7, v12
	v_lshl_or_b32 v12, v10, 12, v5
	v_or_b32_e32 v9, v13, v9
	v_cndmask_b32_e64 v7, 0, 1, vcc_lo
	v_cmp_gt_i32_e32 vcc_lo, 1, v8
	v_or_b32_e32 v7, v14, v7
	v_cndmask_b32_e32 v9, v11, v9, vcc_lo
	v_cmp_gt_i32_e32 vcc_lo, 1, v10
	v_and_b32_e32 v11, 7, v9
	v_cndmask_b32_e32 v7, v12, v7, vcc_lo
	v_cmp_ne_u32_e32 vcc_lo, 0, v2
	v_lshrrev_b32_e32 v9, 2, v9
	v_cmp_eq_u32_e64 s0, 3, v11
	v_and_b32_e32 v12, 7, v7
	v_cndmask_b32_e64 v2, 0, 1, vcc_lo
	v_cmp_ne_u32_e32 vcc_lo, 0, v5
	v_lshrrev_b32_e32 v7, 2, v7
	v_cmp_lt_i32_e64 s1, 5, v12
	v_cmp_eq_u32_e64 s2, 3, v12
	v_cndmask_b32_e64 v5, 0, 1, vcc_lo
	v_cmp_lt_i32_e32 vcc_lo, 5, v11
	v_lshl_or_b32 v2, v2, 9, 0x7c00
	v_lshl_or_b32 v5, v5, 9, 0x7c00
	s_or_b32 vcc_lo, s0, vcc_lo
	v_add_co_ci_u32_e32 v9, vcc_lo, 0, v9, vcc_lo
	s_or_b32 vcc_lo, s2, s1
	v_add_co_ci_u32_e32 v7, vcc_lo, 0, v7, vcc_lo
	v_cmp_gt_i32_e32 vcc_lo, 31, v8
	v_cndmask_b32_e32 v9, 0x7c00, v9, vcc_lo
	v_cmp_gt_i32_e32 vcc_lo, 31, v10
	v_cndmask_b32_e32 v7, 0x7c00, v7, vcc_lo
	v_cmp_eq_u32_e32 vcc_lo, 0x40f, v8
	v_cndmask_b32_e32 v2, v9, v2, vcc_lo
	v_cmp_eq_u32_e32 vcc_lo, 0x40f, v10
	v_add_nc_u32_e32 v9, 0x400, v4
	v_and_or_b32 v2, 0x8000, v3, v2
	v_cndmask_b32_e32 v5, v7, v5, vcc_lo
	v_add_co_u32 v0, vcc_lo, v0, s4
	v_add_co_ci_u32_e32 v1, vcc_lo, s3, v1, vcc_lo
	v_and_or_b32 v3, 0x8000, v6, v5
	v_and_b32_e32 v2, 0xffff, v2
	v_lshl_or_b32 v2, v3, 16, v2
	global_store_dword v[0:1], v2, off
	global_load_dword v5, v43, s[8:9] offset:1100
	ds_read2_b32 v[2:3], v9 offset0:19 offset1:74
	s_waitcnt lgkmcnt(0)
	v_lshrrev_b32_e32 v6, 16, v2
	s_waitcnt vmcnt(0)
	v_mul_f16_sdwa v7, v6, v5 dst_sel:DWORD dst_unused:UNUSED_PAD src0_sel:DWORD src1_sel:WORD_1
	v_mul_f16_sdwa v8, v2, v5 dst_sel:DWORD dst_unused:UNUSED_PAD src0_sel:DWORD src1_sel:WORD_1
	v_fmac_f16_e32 v7, v2, v5
	v_fma_f16 v2, v5, v6, -v8
	v_cvt_f32_f16_e32 v5, v7
	v_cvt_f32_f16_e32 v2, v2
	v_cvt_f64_f32_e32 v[5:6], v5
	v_cvt_f64_f32_e32 v[7:8], v2
	v_mul_f64 v[5:6], v[5:6], s[12:13]
	v_mul_f64 v[7:8], v[7:8], s[12:13]
	v_and_or_b32 v2, 0x1ff, v6, v5
	v_and_or_b32 v7, 0x1ff, v8, v7
	v_lshrrev_b32_e32 v5, 8, v6
	v_bfe_u32 v10, v6, 20, 11
	v_lshrrev_b32_e32 v11, 8, v8
	v_cmp_ne_u32_e32 vcc_lo, 0, v2
	v_bfe_u32 v12, v8, 20, 11
	v_lshrrev_b32_e32 v6, 16, v6
	v_sub_nc_u32_e32 v13, 0x3f1, v10
	v_add_nc_u32_e32 v10, 0xfffffc10, v10
	v_cndmask_b32_e64 v2, 0, 1, vcc_lo
	v_cmp_ne_u32_e32 vcc_lo, 0, v7
	v_lshrrev_b32_e32 v8, 16, v8
	v_and_or_b32 v2, 0xffe, v5, v2
	v_cndmask_b32_e64 v7, 0, 1, vcc_lo
	v_sub_nc_u32_e32 v5, 0x3f1, v12
	v_add_nc_u32_e32 v12, 0xfffffc10, v12
	v_and_or_b32 v7, 0xffe, v11, v7
	v_med3_i32 v11, v13, 0, 13
	v_or_b32_e32 v13, 0x1000, v2
	v_med3_i32 v5, v5, 0, 13
	v_or_b32_e32 v14, 0x1000, v7
	v_lshrrev_b32_e32 v15, v11, v13
	v_lshrrev_b32_e32 v16, v5, v14
	v_lshlrev_b32_e32 v11, v11, v15
	v_lshlrev_b32_e32 v5, v5, v16
	v_cmp_ne_u32_e32 vcc_lo, v11, v13
	v_lshl_or_b32 v13, v10, 12, v2
	v_cndmask_b32_e64 v11, 0, 1, vcc_lo
	v_cmp_ne_u32_e32 vcc_lo, v5, v14
	v_lshl_or_b32 v14, v12, 12, v7
	v_or_b32_e32 v11, v15, v11
	v_cndmask_b32_e64 v5, 0, 1, vcc_lo
	v_cmp_gt_i32_e32 vcc_lo, 1, v10
	v_or_b32_e32 v5, v16, v5
	v_cndmask_b32_e32 v11, v13, v11, vcc_lo
	v_cmp_gt_i32_e32 vcc_lo, 1, v12
	v_and_b32_e32 v13, 7, v11
	v_cndmask_b32_e32 v5, v14, v5, vcc_lo
	v_cmp_ne_u32_e32 vcc_lo, 0, v2
	v_lshrrev_b32_e32 v11, 2, v11
	v_cmp_eq_u32_e64 s0, 3, v13
	v_and_b32_e32 v14, 7, v5
	v_cndmask_b32_e64 v2, 0, 1, vcc_lo
	v_cmp_ne_u32_e32 vcc_lo, 0, v7
	v_lshrrev_b32_e32 v5, 2, v5
	v_cmp_lt_i32_e64 s1, 5, v14
	v_cmp_eq_u32_e64 s2, 3, v14
	v_cndmask_b32_e64 v7, 0, 1, vcc_lo
	v_cmp_lt_i32_e32 vcc_lo, 5, v13
	v_lshl_or_b32 v2, v2, 9, 0x7c00
	v_lshl_or_b32 v7, v7, 9, 0x7c00
	s_or_b32 vcc_lo, s0, vcc_lo
	v_add_co_ci_u32_e32 v11, vcc_lo, 0, v11, vcc_lo
	s_or_b32 vcc_lo, s2, s1
	v_add_co_ci_u32_e32 v5, vcc_lo, 0, v5, vcc_lo
	v_cmp_gt_i32_e32 vcc_lo, 31, v10
	v_cndmask_b32_e32 v11, 0x7c00, v11, vcc_lo
	v_cmp_gt_i32_e32 vcc_lo, 31, v12
	v_cndmask_b32_e32 v5, 0x7c00, v5, vcc_lo
	v_cmp_eq_u32_e32 vcc_lo, 0x40f, v10
	v_cndmask_b32_e32 v2, v11, v2, vcc_lo
	v_cmp_eq_u32_e32 vcc_lo, 0x40f, v12
	v_and_or_b32 v2, 0x8000, v6, v2
	v_cndmask_b32_e32 v5, v5, v7, vcc_lo
	v_add_co_u32 v0, vcc_lo, v0, s4
	v_add_co_ci_u32_e32 v1, vcc_lo, s3, v1, vcc_lo
	v_and_or_b32 v5, 0x8000, v8, v5
	v_and_b32_e32 v2, 0xffff, v2
	v_lshl_or_b32 v2, v5, 16, v2
	v_lshrrev_b32_e32 v5, 16, v3
	global_store_dword v[0:1], v2, off
	global_load_dword v2, v43, s[8:9] offset:1320
	s_waitcnt vmcnt(0)
	v_mul_f16_sdwa v6, v5, v2 dst_sel:DWORD dst_unused:UNUSED_PAD src0_sel:DWORD src1_sel:WORD_1
	v_mul_f16_sdwa v7, v3, v2 dst_sel:DWORD dst_unused:UNUSED_PAD src0_sel:DWORD src1_sel:WORD_1
	v_fmac_f16_e32 v6, v3, v2
	v_fma_f16 v2, v2, v5, -v7
	v_cvt_f32_f16_e32 v3, v6
	v_cvt_f32_f16_e32 v5, v2
	v_cvt_f64_f32_e32 v[2:3], v3
	v_cvt_f64_f32_e32 v[5:6], v5
	v_mul_f64 v[2:3], v[2:3], s[12:13]
	v_mul_f64 v[5:6], v[5:6], s[12:13]
	v_and_or_b32 v2, 0x1ff, v3, v2
	v_and_or_b32 v5, 0x1ff, v6, v5
	v_lshrrev_b32_e32 v7, 8, v3
	v_bfe_u32 v8, v3, 20, 11
	v_lshrrev_b32_e32 v10, 8, v6
	v_cmp_ne_u32_e32 vcc_lo, 0, v2
	v_bfe_u32 v11, v6, 20, 11
	v_lshrrev_b32_e32 v3, 16, v3
	v_sub_nc_u32_e32 v12, 0x3f1, v8
	v_add_nc_u32_e32 v8, 0xfffffc10, v8
	v_cndmask_b32_e64 v2, 0, 1, vcc_lo
	v_cmp_ne_u32_e32 vcc_lo, 0, v5
	v_lshrrev_b32_e32 v6, 16, v6
	v_and_or_b32 v2, 0xffe, v7, v2
	v_cndmask_b32_e64 v5, 0, 1, vcc_lo
	v_sub_nc_u32_e32 v7, 0x3f1, v11
	v_add_nc_u32_e32 v11, 0xfffffc10, v11
	v_and_or_b32 v5, 0xffe, v10, v5
	v_med3_i32 v10, v12, 0, 13
	v_or_b32_e32 v12, 0x1000, v2
	v_med3_i32 v7, v7, 0, 13
	v_or_b32_e32 v13, 0x1000, v5
	v_lshrrev_b32_e32 v14, v10, v12
	v_lshrrev_b32_e32 v15, v7, v13
	v_lshlrev_b32_e32 v10, v10, v14
	v_lshlrev_b32_e32 v7, v7, v15
	v_cmp_ne_u32_e32 vcc_lo, v10, v12
	v_lshl_or_b32 v12, v8, 12, v2
	v_cndmask_b32_e64 v10, 0, 1, vcc_lo
	v_cmp_ne_u32_e32 vcc_lo, v7, v13
	v_lshl_or_b32 v13, v11, 12, v5
	v_or_b32_e32 v10, v14, v10
	v_cndmask_b32_e64 v7, 0, 1, vcc_lo
	v_cmp_gt_i32_e32 vcc_lo, 1, v8
	v_or_b32_e32 v7, v15, v7
	v_cndmask_b32_e32 v10, v12, v10, vcc_lo
	v_cmp_gt_i32_e32 vcc_lo, 1, v11
	v_and_b32_e32 v12, 7, v10
	v_cndmask_b32_e32 v7, v13, v7, vcc_lo
	v_cmp_ne_u32_e32 vcc_lo, 0, v2
	v_lshrrev_b32_e32 v10, 2, v10
	v_cmp_eq_u32_e64 s0, 3, v12
	v_and_b32_e32 v13, 7, v7
	v_cndmask_b32_e64 v2, 0, 1, vcc_lo
	v_cmp_ne_u32_e32 vcc_lo, 0, v5
	v_lshrrev_b32_e32 v7, 2, v7
	v_cmp_lt_i32_e64 s1, 5, v13
	v_cmp_eq_u32_e64 s2, 3, v13
	v_cndmask_b32_e64 v5, 0, 1, vcc_lo
	v_cmp_lt_i32_e32 vcc_lo, 5, v12
	v_lshl_or_b32 v2, v2, 9, 0x7c00
	v_lshl_or_b32 v5, v5, 9, 0x7c00
	s_or_b32 vcc_lo, s0, vcc_lo
	v_add_co_ci_u32_e32 v10, vcc_lo, 0, v10, vcc_lo
	s_or_b32 vcc_lo, s2, s1
	v_add_co_ci_u32_e32 v7, vcc_lo, 0, v7, vcc_lo
	v_cmp_gt_i32_e32 vcc_lo, 31, v8
	v_cndmask_b32_e32 v10, 0x7c00, v10, vcc_lo
	v_cmp_gt_i32_e32 vcc_lo, 31, v11
	v_cndmask_b32_e32 v7, 0x7c00, v7, vcc_lo
	v_cmp_eq_u32_e32 vcc_lo, 0x40f, v8
	v_cndmask_b32_e32 v2, v10, v2, vcc_lo
	v_cmp_eq_u32_e32 vcc_lo, 0x40f, v11
	v_and_or_b32 v2, 0x8000, v3, v2
	v_cndmask_b32_e32 v5, v7, v5, vcc_lo
	v_add_co_u32 v0, vcc_lo, v0, s4
	v_add_co_ci_u32_e32 v1, vcc_lo, s3, v1, vcc_lo
	v_and_or_b32 v3, 0x8000, v6, v5
	v_and_b32_e32 v2, 0xffff, v2
	v_lshl_or_b32 v2, v3, 16, v2
	global_store_dword v[0:1], v2, off
	global_load_dword v5, v43, s[8:9] offset:1540
	ds_read2_b32 v[2:3], v9 offset0:129 offset1:184
	s_waitcnt lgkmcnt(0)
	v_lshrrev_b32_e32 v6, 16, v2
	s_waitcnt vmcnt(0)
	v_mul_f16_sdwa v7, v6, v5 dst_sel:DWORD dst_unused:UNUSED_PAD src0_sel:DWORD src1_sel:WORD_1
	v_mul_f16_sdwa v8, v2, v5 dst_sel:DWORD dst_unused:UNUSED_PAD src0_sel:DWORD src1_sel:WORD_1
	v_fmac_f16_e32 v7, v2, v5
	v_fma_f16 v2, v5, v6, -v8
	v_cvt_f32_f16_e32 v5, v7
	v_cvt_f32_f16_e32 v2, v2
	v_cvt_f64_f32_e32 v[5:6], v5
	v_cvt_f64_f32_e32 v[7:8], v2
	v_mul_f64 v[5:6], v[5:6], s[12:13]
	v_mul_f64 v[7:8], v[7:8], s[12:13]
	v_and_or_b32 v2, 0x1ff, v6, v5
	v_and_or_b32 v7, 0x1ff, v8, v7
	v_lshrrev_b32_e32 v5, 8, v6
	v_bfe_u32 v9, v6, 20, 11
	v_lshrrev_b32_e32 v10, 8, v8
	v_cmp_ne_u32_e32 vcc_lo, 0, v2
	v_bfe_u32 v11, v8, 20, 11
	v_lshrrev_b32_e32 v6, 16, v6
	v_sub_nc_u32_e32 v12, 0x3f1, v9
	v_add_nc_u32_e32 v9, 0xfffffc10, v9
	v_cndmask_b32_e64 v2, 0, 1, vcc_lo
	v_cmp_ne_u32_e32 vcc_lo, 0, v7
	v_lshrrev_b32_e32 v8, 16, v8
	v_and_or_b32 v2, 0xffe, v5, v2
	v_cndmask_b32_e64 v7, 0, 1, vcc_lo
	v_sub_nc_u32_e32 v5, 0x3f1, v11
	v_add_nc_u32_e32 v11, 0xfffffc10, v11
	v_and_or_b32 v7, 0xffe, v10, v7
	v_med3_i32 v10, v12, 0, 13
	v_or_b32_e32 v12, 0x1000, v2
	v_med3_i32 v5, v5, 0, 13
	v_or_b32_e32 v13, 0x1000, v7
	v_lshrrev_b32_e32 v14, v10, v12
	v_lshrrev_b32_e32 v15, v5, v13
	v_lshlrev_b32_e32 v10, v10, v14
	v_lshlrev_b32_e32 v5, v5, v15
	v_cmp_ne_u32_e32 vcc_lo, v10, v12
	v_lshl_or_b32 v12, v9, 12, v2
	v_cndmask_b32_e64 v10, 0, 1, vcc_lo
	v_cmp_ne_u32_e32 vcc_lo, v5, v13
	v_lshl_or_b32 v13, v11, 12, v7
	v_or_b32_e32 v10, v14, v10
	v_cndmask_b32_e64 v5, 0, 1, vcc_lo
	v_cmp_gt_i32_e32 vcc_lo, 1, v9
	v_or_b32_e32 v5, v15, v5
	v_cndmask_b32_e32 v10, v12, v10, vcc_lo
	v_cmp_gt_i32_e32 vcc_lo, 1, v11
	v_and_b32_e32 v12, 7, v10
	v_cndmask_b32_e32 v5, v13, v5, vcc_lo
	v_cmp_ne_u32_e32 vcc_lo, 0, v2
	v_lshrrev_b32_e32 v10, 2, v10
	v_cmp_eq_u32_e64 s0, 3, v12
	v_and_b32_e32 v13, 7, v5
	v_cndmask_b32_e64 v2, 0, 1, vcc_lo
	v_cmp_ne_u32_e32 vcc_lo, 0, v7
	v_lshrrev_b32_e32 v5, 2, v5
	v_cmp_lt_i32_e64 s1, 5, v13
	v_cmp_eq_u32_e64 s2, 3, v13
	v_cndmask_b32_e64 v7, 0, 1, vcc_lo
	v_cmp_lt_i32_e32 vcc_lo, 5, v12
	v_lshl_or_b32 v2, v2, 9, 0x7c00
	v_lshl_or_b32 v7, v7, 9, 0x7c00
	s_or_b32 vcc_lo, s0, vcc_lo
	v_add_co_ci_u32_e32 v10, vcc_lo, 0, v10, vcc_lo
	s_or_b32 vcc_lo, s2, s1
	v_add_co_ci_u32_e32 v5, vcc_lo, 0, v5, vcc_lo
	v_cmp_gt_i32_e32 vcc_lo, 31, v9
	v_cndmask_b32_e32 v10, 0x7c00, v10, vcc_lo
	v_cmp_gt_i32_e32 vcc_lo, 31, v11
	v_cndmask_b32_e32 v5, 0x7c00, v5, vcc_lo
	v_cmp_eq_u32_e32 vcc_lo, 0x40f, v9
	v_cndmask_b32_e32 v2, v10, v2, vcc_lo
	v_cmp_eq_u32_e32 vcc_lo, 0x40f, v11
	v_and_or_b32 v2, 0x8000, v6, v2
	v_cndmask_b32_e32 v5, v5, v7, vcc_lo
	v_add_co_u32 v0, vcc_lo, v0, s4
	v_add_co_ci_u32_e32 v1, vcc_lo, s3, v1, vcc_lo
	v_and_or_b32 v5, 0x8000, v8, v5
	v_and_b32_e32 v2, 0xffff, v2
	v_lshl_or_b32 v2, v5, 16, v2
	v_lshrrev_b32_e32 v5, 16, v3
	global_store_dword v[0:1], v2, off
	global_load_dword v2, v43, s[8:9] offset:1760
	s_waitcnt vmcnt(0)
	v_mul_f16_sdwa v6, v5, v2 dst_sel:DWORD dst_unused:UNUSED_PAD src0_sel:DWORD src1_sel:WORD_1
	v_mul_f16_sdwa v7, v3, v2 dst_sel:DWORD dst_unused:UNUSED_PAD src0_sel:DWORD src1_sel:WORD_1
	v_fmac_f16_e32 v6, v3, v2
	v_fma_f16 v2, v2, v5, -v7
	v_cvt_f32_f16_e32 v3, v6
	v_cvt_f32_f16_e32 v5, v2
	v_cvt_f64_f32_e32 v[2:3], v3
	v_cvt_f64_f32_e32 v[5:6], v5
	v_mul_f64 v[2:3], v[2:3], s[12:13]
	v_mul_f64 v[5:6], v[5:6], s[12:13]
	v_and_or_b32 v2, 0x1ff, v3, v2
	v_and_or_b32 v5, 0x1ff, v6, v5
	v_lshrrev_b32_e32 v7, 8, v3
	v_bfe_u32 v8, v3, 20, 11
	v_lshrrev_b32_e32 v9, 8, v6
	v_cmp_ne_u32_e32 vcc_lo, 0, v2
	v_bfe_u32 v10, v6, 20, 11
	v_lshrrev_b32_e32 v3, 16, v3
	v_sub_nc_u32_e32 v11, 0x3f1, v8
	v_add_nc_u32_e32 v8, 0xfffffc10, v8
	v_cndmask_b32_e64 v2, 0, 1, vcc_lo
	v_cmp_ne_u32_e32 vcc_lo, 0, v5
	v_lshrrev_b32_e32 v6, 16, v6
	v_and_or_b32 v2, 0xffe, v7, v2
	v_cndmask_b32_e64 v5, 0, 1, vcc_lo
	v_sub_nc_u32_e32 v7, 0x3f1, v10
	v_add_nc_u32_e32 v10, 0xfffffc10, v10
	v_and_or_b32 v5, 0xffe, v9, v5
	v_med3_i32 v9, v11, 0, 13
	v_or_b32_e32 v11, 0x1000, v2
	v_med3_i32 v7, v7, 0, 13
	v_or_b32_e32 v12, 0x1000, v5
	v_lshrrev_b32_e32 v13, v9, v11
	v_lshrrev_b32_e32 v14, v7, v12
	v_lshlrev_b32_e32 v9, v9, v13
	v_lshlrev_b32_e32 v7, v7, v14
	v_cmp_ne_u32_e32 vcc_lo, v9, v11
	v_lshl_or_b32 v11, v8, 12, v2
	v_cndmask_b32_e64 v9, 0, 1, vcc_lo
	v_cmp_ne_u32_e32 vcc_lo, v7, v12
	v_lshl_or_b32 v12, v10, 12, v5
	v_or_b32_e32 v9, v13, v9
	v_cndmask_b32_e64 v7, 0, 1, vcc_lo
	v_cmp_gt_i32_e32 vcc_lo, 1, v8
	v_or_b32_e32 v7, v14, v7
	v_cndmask_b32_e32 v9, v11, v9, vcc_lo
	v_cmp_gt_i32_e32 vcc_lo, 1, v10
	v_and_b32_e32 v11, 7, v9
	v_cndmask_b32_e32 v7, v12, v7, vcc_lo
	v_cmp_ne_u32_e32 vcc_lo, 0, v2
	v_lshrrev_b32_e32 v9, 2, v9
	v_cmp_eq_u32_e64 s0, 3, v11
	v_and_b32_e32 v12, 7, v7
	v_cndmask_b32_e64 v2, 0, 1, vcc_lo
	v_cmp_ne_u32_e32 vcc_lo, 0, v5
	v_lshrrev_b32_e32 v7, 2, v7
	v_cmp_lt_i32_e64 s1, 5, v12
	v_cmp_eq_u32_e64 s2, 3, v12
	v_cndmask_b32_e64 v5, 0, 1, vcc_lo
	v_cmp_lt_i32_e32 vcc_lo, 5, v11
	v_lshl_or_b32 v2, v2, 9, 0x7c00
	v_lshl_or_b32 v5, v5, 9, 0x7c00
	s_or_b32 vcc_lo, s0, vcc_lo
	v_add_co_ci_u32_e32 v9, vcc_lo, 0, v9, vcc_lo
	s_or_b32 vcc_lo, s2, s1
	v_add_co_ci_u32_e32 v7, vcc_lo, 0, v7, vcc_lo
	v_cmp_gt_i32_e32 vcc_lo, 31, v8
	v_cndmask_b32_e32 v9, 0x7c00, v9, vcc_lo
	v_cmp_gt_i32_e32 vcc_lo, 31, v10
	v_cndmask_b32_e32 v7, 0x7c00, v7, vcc_lo
	v_cmp_eq_u32_e32 vcc_lo, 0x40f, v8
	v_cndmask_b32_e32 v2, v9, v2, vcc_lo
	v_cmp_eq_u32_e32 vcc_lo, 0x40f, v10
	v_and_or_b32 v2, 0x8000, v3, v2
	v_cndmask_b32_e32 v5, v7, v5, vcc_lo
	v_add_co_u32 v0, vcc_lo, v0, s4
	v_add_co_ci_u32_e32 v1, vcc_lo, s3, v1, vcc_lo
	v_and_or_b32 v3, 0x8000, v6, v5
	v_and_b32_e32 v2, 0xffff, v2
	v_lshl_or_b32 v2, v3, 16, v2
	global_store_dword v[0:1], v2, off
	global_load_dword v5, v43, s[8:9] offset:1980
	v_add_nc_u32_e32 v2, 0x600, v4
	ds_read2_b32 v[2:3], v2 offset0:111 offset1:166
	s_waitcnt lgkmcnt(0)
	v_lshrrev_b32_e32 v6, 16, v2
	s_waitcnt vmcnt(0)
	v_mul_f16_sdwa v7, v6, v5 dst_sel:DWORD dst_unused:UNUSED_PAD src0_sel:DWORD src1_sel:WORD_1
	v_mul_f16_sdwa v8, v2, v5 dst_sel:DWORD dst_unused:UNUSED_PAD src0_sel:DWORD src1_sel:WORD_1
	v_fmac_f16_e32 v7, v2, v5
	v_fma_f16 v2, v5, v6, -v8
	v_cvt_f32_f16_e32 v5, v7
	v_cvt_f32_f16_e32 v2, v2
	v_cvt_f64_f32_e32 v[5:6], v5
	v_cvt_f64_f32_e32 v[7:8], v2
	v_mul_f64 v[5:6], v[5:6], s[12:13]
	v_mul_f64 v[7:8], v[7:8], s[12:13]
	v_and_or_b32 v2, 0x1ff, v6, v5
	v_and_or_b32 v7, 0x1ff, v8, v7
	v_lshrrev_b32_e32 v5, 8, v6
	v_bfe_u32 v9, v6, 20, 11
	v_lshrrev_b32_e32 v10, 8, v8
	v_cmp_ne_u32_e32 vcc_lo, 0, v2
	v_bfe_u32 v11, v8, 20, 11
	v_lshrrev_b32_e32 v6, 16, v6
	v_sub_nc_u32_e32 v12, 0x3f1, v9
	v_add_nc_u32_e32 v9, 0xfffffc10, v9
	v_cndmask_b32_e64 v2, 0, 1, vcc_lo
	v_cmp_ne_u32_e32 vcc_lo, 0, v7
	v_lshrrev_b32_e32 v8, 16, v8
	v_and_or_b32 v2, 0xffe, v5, v2
	v_cndmask_b32_e64 v7, 0, 1, vcc_lo
	v_sub_nc_u32_e32 v5, 0x3f1, v11
	v_add_nc_u32_e32 v11, 0xfffffc10, v11
	v_and_or_b32 v7, 0xffe, v10, v7
	v_med3_i32 v10, v12, 0, 13
	v_or_b32_e32 v12, 0x1000, v2
	v_med3_i32 v5, v5, 0, 13
	v_or_b32_e32 v13, 0x1000, v7
	v_lshrrev_b32_e32 v14, v10, v12
	v_lshrrev_b32_e32 v15, v5, v13
	v_lshlrev_b32_e32 v10, v10, v14
	v_lshlrev_b32_e32 v5, v5, v15
	v_cmp_ne_u32_e32 vcc_lo, v10, v12
	v_lshl_or_b32 v12, v9, 12, v2
	v_cndmask_b32_e64 v10, 0, 1, vcc_lo
	v_cmp_ne_u32_e32 vcc_lo, v5, v13
	v_lshl_or_b32 v13, v11, 12, v7
	v_or_b32_e32 v10, v14, v10
	v_cndmask_b32_e64 v5, 0, 1, vcc_lo
	v_cmp_gt_i32_e32 vcc_lo, 1, v9
	v_or_b32_e32 v5, v15, v5
	v_cndmask_b32_e32 v10, v12, v10, vcc_lo
	v_cmp_gt_i32_e32 vcc_lo, 1, v11
	v_and_b32_e32 v12, 7, v10
	v_cndmask_b32_e32 v5, v13, v5, vcc_lo
	v_cmp_ne_u32_e32 vcc_lo, 0, v2
	v_lshrrev_b32_e32 v10, 2, v10
	v_cmp_eq_u32_e64 s0, 3, v12
	v_and_b32_e32 v13, 7, v5
	v_cndmask_b32_e64 v2, 0, 1, vcc_lo
	v_cmp_ne_u32_e32 vcc_lo, 0, v7
	v_lshrrev_b32_e32 v5, 2, v5
	v_cmp_lt_i32_e64 s1, 5, v13
	v_cmp_eq_u32_e64 s2, 3, v13
	v_cndmask_b32_e64 v7, 0, 1, vcc_lo
	v_cmp_lt_i32_e32 vcc_lo, 5, v12
	v_lshl_or_b32 v2, v2, 9, 0x7c00
	v_lshl_or_b32 v7, v7, 9, 0x7c00
	s_or_b32 vcc_lo, s0, vcc_lo
	v_add_co_ci_u32_e32 v10, vcc_lo, 0, v10, vcc_lo
	s_or_b32 vcc_lo, s2, s1
	v_add_co_ci_u32_e32 v5, vcc_lo, 0, v5, vcc_lo
	v_cmp_gt_i32_e32 vcc_lo, 31, v9
	v_cndmask_b32_e32 v10, 0x7c00, v10, vcc_lo
	v_cmp_gt_i32_e32 vcc_lo, 31, v11
	v_cndmask_b32_e32 v5, 0x7c00, v5, vcc_lo
	v_cmp_eq_u32_e32 vcc_lo, 0x40f, v9
	v_cndmask_b32_e32 v2, v10, v2, vcc_lo
	v_cmp_eq_u32_e32 vcc_lo, 0x40f, v11
	v_and_or_b32 v2, 0x8000, v6, v2
	v_cndmask_b32_e32 v5, v5, v7, vcc_lo
	v_add_co_u32 v7, s0, s8, v43
	v_add_co_ci_u32_e64 v9, null, s9, 0, s0
	v_and_or_b32 v8, 0x8000, v8, v5
	v_and_b32_e32 v2, 0xffff, v2
	v_add_co_u32 v5, vcc_lo, v0, s4
	v_add_co_ci_u32_e32 v6, vcc_lo, s3, v1, vcc_lo
	v_add_co_u32 v0, vcc_lo, 0x800, v7
	v_lshl_or_b32 v2, v8, 16, v2
	v_add_co_ci_u32_e32 v1, vcc_lo, 0, v9, vcc_lo
	v_lshrrev_b32_e32 v7, 16, v3
	global_store_dword v[5:6], v2, off
	global_load_dword v2, v[0:1], off offset:152
	s_waitcnt vmcnt(0)
	v_mul_f16_sdwa v8, v7, v2 dst_sel:DWORD dst_unused:UNUSED_PAD src0_sel:DWORD src1_sel:WORD_1
	v_mul_f16_sdwa v9, v3, v2 dst_sel:DWORD dst_unused:UNUSED_PAD src0_sel:DWORD src1_sel:WORD_1
	v_fmac_f16_e32 v8, v3, v2
	v_fma_f16 v2, v2, v7, -v9
	v_cvt_f32_f16_e32 v3, v8
	v_cvt_f32_f16_e32 v7, v2
	v_cvt_f64_f32_e32 v[2:3], v3
	v_cvt_f64_f32_e32 v[7:8], v7
	v_mul_f64 v[2:3], v[2:3], s[12:13]
	v_mul_f64 v[7:8], v[7:8], s[12:13]
	v_and_or_b32 v2, 0x1ff, v3, v2
	v_and_or_b32 v7, 0x1ff, v8, v7
	v_lshrrev_b32_e32 v9, 8, v3
	v_bfe_u32 v10, v3, 20, 11
	v_lshrrev_b32_e32 v11, 8, v8
	v_cmp_ne_u32_e32 vcc_lo, 0, v2
	v_bfe_u32 v12, v8, 20, 11
	v_lshrrev_b32_e32 v3, 16, v3
	v_sub_nc_u32_e32 v13, 0x3f1, v10
	v_add_nc_u32_e32 v10, 0xfffffc10, v10
	v_cndmask_b32_e64 v2, 0, 1, vcc_lo
	v_cmp_ne_u32_e32 vcc_lo, 0, v7
	v_lshrrev_b32_e32 v8, 16, v8
	v_and_or_b32 v2, 0xffe, v9, v2
	v_cndmask_b32_e64 v7, 0, 1, vcc_lo
	v_sub_nc_u32_e32 v9, 0x3f1, v12
	v_add_nc_u32_e32 v12, 0xfffffc10, v12
	v_and_or_b32 v7, 0xffe, v11, v7
	v_med3_i32 v11, v13, 0, 13
	v_or_b32_e32 v13, 0x1000, v2
	v_med3_i32 v9, v9, 0, 13
	v_or_b32_e32 v14, 0x1000, v7
	v_lshrrev_b32_e32 v15, v11, v13
	v_lshrrev_b32_e32 v16, v9, v14
	v_lshlrev_b32_e32 v11, v11, v15
	v_lshlrev_b32_e32 v9, v9, v16
	v_cmp_ne_u32_e32 vcc_lo, v11, v13
	v_lshl_or_b32 v13, v10, 12, v2
	v_cndmask_b32_e64 v11, 0, 1, vcc_lo
	v_cmp_ne_u32_e32 vcc_lo, v9, v14
	v_lshl_or_b32 v14, v12, 12, v7
	v_or_b32_e32 v11, v15, v11
	v_cndmask_b32_e64 v9, 0, 1, vcc_lo
	v_cmp_gt_i32_e32 vcc_lo, 1, v10
	v_or_b32_e32 v9, v16, v9
	v_cndmask_b32_e32 v11, v13, v11, vcc_lo
	v_cmp_gt_i32_e32 vcc_lo, 1, v12
	v_and_b32_e32 v13, 7, v11
	v_cndmask_b32_e32 v9, v14, v9, vcc_lo
	v_cmp_ne_u32_e32 vcc_lo, 0, v2
	v_lshrrev_b32_e32 v11, 2, v11
	v_cmp_eq_u32_e64 s0, 3, v13
	v_and_b32_e32 v14, 7, v9
	v_cndmask_b32_e64 v2, 0, 1, vcc_lo
	v_cmp_ne_u32_e32 vcc_lo, 0, v7
	v_lshrrev_b32_e32 v9, 2, v9
	v_cmp_lt_i32_e64 s1, 5, v14
	v_cmp_eq_u32_e64 s2, 3, v14
	v_cndmask_b32_e64 v7, 0, 1, vcc_lo
	v_cmp_lt_i32_e32 vcc_lo, 5, v13
	v_lshl_or_b32 v2, v2, 9, 0x7c00
	v_lshl_or_b32 v7, v7, 9, 0x7c00
	s_or_b32 vcc_lo, s0, vcc_lo
	v_add_co_ci_u32_e32 v11, vcc_lo, 0, v11, vcc_lo
	s_or_b32 vcc_lo, s2, s1
	v_add_co_ci_u32_e32 v9, vcc_lo, 0, v9, vcc_lo
	v_cmp_gt_i32_e32 vcc_lo, 31, v10
	v_cndmask_b32_e32 v11, 0x7c00, v11, vcc_lo
	v_cmp_gt_i32_e32 vcc_lo, 31, v12
	v_cndmask_b32_e32 v9, 0x7c00, v9, vcc_lo
	v_cmp_eq_u32_e32 vcc_lo, 0x40f, v10
	v_cndmask_b32_e32 v2, v11, v2, vcc_lo
	v_cmp_eq_u32_e32 vcc_lo, 0x40f, v12
	v_and_or_b32 v2, 0x8000, v3, v2
	v_cndmask_b32_e32 v7, v9, v7, vcc_lo
	v_and_or_b32 v7, 0x8000, v8, v7
	v_and_b32_e32 v8, 0xffff, v2
	v_add_co_u32 v2, vcc_lo, v5, s4
	v_add_co_ci_u32_e32 v3, vcc_lo, s3, v6, vcc_lo
	v_lshl_or_b32 v5, v7, 16, v8
	global_store_dword v[2:3], v5, off
	global_load_dword v7, v[0:1], off offset:372
	v_add_nc_u32_e32 v5, 0x800, v4
	ds_read2_b32 v[5:6], v5 offset0:93 offset1:148
	s_waitcnt lgkmcnt(0)
	v_lshrrev_b32_e32 v8, 16, v5
	s_waitcnt vmcnt(0)
	v_mul_f16_sdwa v9, v8, v7 dst_sel:DWORD dst_unused:UNUSED_PAD src0_sel:DWORD src1_sel:WORD_1
	v_mul_f16_sdwa v10, v5, v7 dst_sel:DWORD dst_unused:UNUSED_PAD src0_sel:DWORD src1_sel:WORD_1
	v_fmac_f16_e32 v9, v5, v7
	v_fma_f16 v5, v7, v8, -v10
	v_cvt_f32_f16_e32 v7, v9
	v_cvt_f32_f16_e32 v5, v5
	v_cvt_f64_f32_e32 v[7:8], v7
	v_cvt_f64_f32_e32 v[9:10], v5
	v_mul_f64 v[7:8], v[7:8], s[12:13]
	v_mul_f64 v[9:10], v[9:10], s[12:13]
	v_and_or_b32 v5, 0x1ff, v8, v7
	v_and_or_b32 v9, 0x1ff, v10, v9
	v_lshrrev_b32_e32 v7, 8, v8
	v_bfe_u32 v11, v8, 20, 11
	v_lshrrev_b32_e32 v12, 8, v10
	v_cmp_ne_u32_e32 vcc_lo, 0, v5
	v_bfe_u32 v13, v10, 20, 11
	v_lshrrev_b32_e32 v8, 16, v8
	v_sub_nc_u32_e32 v14, 0x3f1, v11
	v_add_nc_u32_e32 v11, 0xfffffc10, v11
	v_cndmask_b32_e64 v5, 0, 1, vcc_lo
	v_cmp_ne_u32_e32 vcc_lo, 0, v9
	v_lshrrev_b32_e32 v10, 16, v10
	v_and_or_b32 v5, 0xffe, v7, v5
	v_cndmask_b32_e64 v9, 0, 1, vcc_lo
	v_sub_nc_u32_e32 v7, 0x3f1, v13
	v_add_nc_u32_e32 v13, 0xfffffc10, v13
	v_and_or_b32 v9, 0xffe, v12, v9
	v_med3_i32 v12, v14, 0, 13
	v_or_b32_e32 v14, 0x1000, v5
	v_med3_i32 v7, v7, 0, 13
	v_or_b32_e32 v15, 0x1000, v9
	v_lshrrev_b32_e32 v16, v12, v14
	v_lshrrev_b32_e32 v17, v7, v15
	v_lshlrev_b32_e32 v12, v12, v16
	v_lshlrev_b32_e32 v7, v7, v17
	v_cmp_ne_u32_e32 vcc_lo, v12, v14
	v_lshl_or_b32 v14, v11, 12, v5
	v_cndmask_b32_e64 v12, 0, 1, vcc_lo
	v_cmp_ne_u32_e32 vcc_lo, v7, v15
	v_lshl_or_b32 v15, v13, 12, v9
	v_or_b32_e32 v12, v16, v12
	v_cndmask_b32_e64 v7, 0, 1, vcc_lo
	v_cmp_gt_i32_e32 vcc_lo, 1, v11
	v_or_b32_e32 v7, v17, v7
	v_cndmask_b32_e32 v12, v14, v12, vcc_lo
	v_cmp_gt_i32_e32 vcc_lo, 1, v13
	v_and_b32_e32 v14, 7, v12
	v_cndmask_b32_e32 v7, v15, v7, vcc_lo
	v_cmp_ne_u32_e32 vcc_lo, 0, v5
	v_lshrrev_b32_e32 v12, 2, v12
	v_cmp_eq_u32_e64 s0, 3, v14
	v_and_b32_e32 v15, 7, v7
	v_cndmask_b32_e64 v5, 0, 1, vcc_lo
	v_cmp_ne_u32_e32 vcc_lo, 0, v9
	v_lshrrev_b32_e32 v7, 2, v7
	v_cmp_lt_i32_e64 s1, 5, v15
	v_cmp_eq_u32_e64 s2, 3, v15
	v_cndmask_b32_e64 v9, 0, 1, vcc_lo
	v_cmp_lt_i32_e32 vcc_lo, 5, v14
	v_lshl_or_b32 v5, v5, 9, 0x7c00
	v_lshl_or_b32 v9, v9, 9, 0x7c00
	s_or_b32 vcc_lo, s0, vcc_lo
	v_add_co_ci_u32_e32 v12, vcc_lo, 0, v12, vcc_lo
	s_or_b32 vcc_lo, s2, s1
	v_add_co_ci_u32_e32 v7, vcc_lo, 0, v7, vcc_lo
	v_cmp_gt_i32_e32 vcc_lo, 31, v11
	v_cndmask_b32_e32 v12, 0x7c00, v12, vcc_lo
	v_cmp_gt_i32_e32 vcc_lo, 31, v13
	v_cndmask_b32_e32 v7, 0x7c00, v7, vcc_lo
	v_cmp_eq_u32_e32 vcc_lo, 0x40f, v11
	v_cndmask_b32_e32 v5, v12, v5, vcc_lo
	v_cmp_eq_u32_e32 vcc_lo, 0x40f, v13
	v_and_or_b32 v5, 0x8000, v8, v5
	v_cndmask_b32_e32 v7, v7, v9, vcc_lo
	v_add_co_u32 v2, vcc_lo, v2, s4
	v_add_co_ci_u32_e32 v3, vcc_lo, s3, v3, vcc_lo
	v_and_or_b32 v7, 0x8000, v10, v7
	v_and_b32_e32 v5, 0xffff, v5
	v_lshl_or_b32 v5, v7, 16, v5
	v_lshrrev_b32_e32 v7, 16, v6
	global_store_dword v[2:3], v5, off
	global_load_dword v5, v[0:1], off offset:592
	s_waitcnt vmcnt(0)
	v_mul_f16_sdwa v8, v7, v5 dst_sel:DWORD dst_unused:UNUSED_PAD src0_sel:DWORD src1_sel:WORD_1
	v_mul_f16_sdwa v9, v6, v5 dst_sel:DWORD dst_unused:UNUSED_PAD src0_sel:DWORD src1_sel:WORD_1
	v_fmac_f16_e32 v8, v6, v5
	v_fma_f16 v5, v5, v7, -v9
	v_cvt_f32_f16_e32 v6, v8
	v_cvt_f32_f16_e32 v7, v5
	v_cvt_f64_f32_e32 v[5:6], v6
	v_cvt_f64_f32_e32 v[7:8], v7
	v_mul_f64 v[5:6], v[5:6], s[12:13]
	v_mul_f64 v[7:8], v[7:8], s[12:13]
	v_and_or_b32 v5, 0x1ff, v6, v5
	v_and_or_b32 v7, 0x1ff, v8, v7
	v_lshrrev_b32_e32 v9, 8, v6
	v_bfe_u32 v10, v6, 20, 11
	v_lshrrev_b32_e32 v11, 8, v8
	v_cmp_ne_u32_e32 vcc_lo, 0, v5
	v_bfe_u32 v12, v8, 20, 11
	v_lshrrev_b32_e32 v6, 16, v6
	v_sub_nc_u32_e32 v13, 0x3f1, v10
	v_add_nc_u32_e32 v10, 0xfffffc10, v10
	v_cndmask_b32_e64 v5, 0, 1, vcc_lo
	v_cmp_ne_u32_e32 vcc_lo, 0, v7
	v_lshrrev_b32_e32 v8, 16, v8
	v_and_or_b32 v5, 0xffe, v9, v5
	v_cndmask_b32_e64 v7, 0, 1, vcc_lo
	v_sub_nc_u32_e32 v9, 0x3f1, v12
	v_add_nc_u32_e32 v12, 0xfffffc10, v12
	v_and_or_b32 v7, 0xffe, v11, v7
	v_med3_i32 v11, v13, 0, 13
	v_or_b32_e32 v13, 0x1000, v5
	v_med3_i32 v9, v9, 0, 13
	v_or_b32_e32 v14, 0x1000, v7
	v_lshrrev_b32_e32 v15, v11, v13
	v_lshrrev_b32_e32 v16, v9, v14
	v_lshlrev_b32_e32 v11, v11, v15
	v_lshlrev_b32_e32 v9, v9, v16
	v_cmp_ne_u32_e32 vcc_lo, v11, v13
	v_lshl_or_b32 v13, v10, 12, v5
	v_cndmask_b32_e64 v11, 0, 1, vcc_lo
	v_cmp_ne_u32_e32 vcc_lo, v9, v14
	v_lshl_or_b32 v14, v12, 12, v7
	v_or_b32_e32 v11, v15, v11
	v_cndmask_b32_e64 v9, 0, 1, vcc_lo
	v_cmp_gt_i32_e32 vcc_lo, 1, v10
	v_or_b32_e32 v9, v16, v9
	v_cndmask_b32_e32 v11, v13, v11, vcc_lo
	v_cmp_gt_i32_e32 vcc_lo, 1, v12
	v_and_b32_e32 v13, 7, v11
	v_cndmask_b32_e32 v9, v14, v9, vcc_lo
	v_cmp_ne_u32_e32 vcc_lo, 0, v5
	v_lshrrev_b32_e32 v11, 2, v11
	v_cmp_eq_u32_e64 s0, 3, v13
	v_and_b32_e32 v14, 7, v9
	v_cndmask_b32_e64 v5, 0, 1, vcc_lo
	v_cmp_ne_u32_e32 vcc_lo, 0, v7
	v_lshrrev_b32_e32 v9, 2, v9
	v_cmp_lt_i32_e64 s1, 5, v14
	v_cmp_eq_u32_e64 s2, 3, v14
	v_cndmask_b32_e64 v7, 0, 1, vcc_lo
	v_cmp_lt_i32_e32 vcc_lo, 5, v13
	v_lshl_or_b32 v5, v5, 9, 0x7c00
	v_lshl_or_b32 v7, v7, 9, 0x7c00
	s_or_b32 vcc_lo, s0, vcc_lo
	v_add_co_ci_u32_e32 v11, vcc_lo, 0, v11, vcc_lo
	s_or_b32 vcc_lo, s2, s1
	v_add_co_ci_u32_e32 v9, vcc_lo, 0, v9, vcc_lo
	v_cmp_gt_i32_e32 vcc_lo, 31, v10
	v_cndmask_b32_e32 v11, 0x7c00, v11, vcc_lo
	v_cmp_gt_i32_e32 vcc_lo, 31, v12
	v_cndmask_b32_e32 v9, 0x7c00, v9, vcc_lo
	v_cmp_eq_u32_e32 vcc_lo, 0x40f, v10
	v_cndmask_b32_e32 v5, v11, v5, vcc_lo
	v_cmp_eq_u32_e32 vcc_lo, 0x40f, v12
	v_and_or_b32 v5, 0x8000, v6, v5
	v_cndmask_b32_e32 v7, v9, v7, vcc_lo
	v_add_co_u32 v2, vcc_lo, v2, s4
	v_add_co_ci_u32_e32 v3, vcc_lo, s3, v3, vcc_lo
	v_and_or_b32 v6, 0x8000, v8, v7
	v_and_b32_e32 v5, 0xffff, v5
	v_lshl_or_b32 v5, v6, 16, v5
	global_store_dword v[2:3], v5, off
	global_load_dword v7, v[0:1], off offset:812
	v_add_nc_u32_e32 v5, 0xa00, v4
	v_add_nc_u32_e32 v4, 0xc00, v4
	ds_read2_b32 v[5:6], v5 offset0:75 offset1:130
	s_waitcnt lgkmcnt(0)
	v_lshrrev_b32_e32 v8, 16, v5
	s_waitcnt vmcnt(0)
	v_mul_f16_sdwa v9, v8, v7 dst_sel:DWORD dst_unused:UNUSED_PAD src0_sel:DWORD src1_sel:WORD_1
	v_mul_f16_sdwa v10, v5, v7 dst_sel:DWORD dst_unused:UNUSED_PAD src0_sel:DWORD src1_sel:WORD_1
	v_fmac_f16_e32 v9, v5, v7
	v_fma_f16 v5, v7, v8, -v10
	v_cvt_f32_f16_e32 v7, v9
	v_cvt_f32_f16_e32 v5, v5
	v_cvt_f64_f32_e32 v[7:8], v7
	v_cvt_f64_f32_e32 v[9:10], v5
	v_mul_f64 v[7:8], v[7:8], s[12:13]
	v_mul_f64 v[9:10], v[9:10], s[12:13]
	v_and_or_b32 v5, 0x1ff, v8, v7
	v_and_or_b32 v9, 0x1ff, v10, v9
	v_lshrrev_b32_e32 v7, 8, v8
	v_bfe_u32 v11, v8, 20, 11
	v_lshrrev_b32_e32 v12, 8, v10
	v_cmp_ne_u32_e32 vcc_lo, 0, v5
	v_bfe_u32 v13, v10, 20, 11
	v_lshrrev_b32_e32 v8, 16, v8
	v_sub_nc_u32_e32 v14, 0x3f1, v11
	v_add_nc_u32_e32 v11, 0xfffffc10, v11
	v_cndmask_b32_e64 v5, 0, 1, vcc_lo
	v_cmp_ne_u32_e32 vcc_lo, 0, v9
	v_lshrrev_b32_e32 v10, 16, v10
	v_and_or_b32 v5, 0xffe, v7, v5
	v_cndmask_b32_e64 v9, 0, 1, vcc_lo
	v_sub_nc_u32_e32 v7, 0x3f1, v13
	v_add_nc_u32_e32 v13, 0xfffffc10, v13
	v_and_or_b32 v9, 0xffe, v12, v9
	v_med3_i32 v12, v14, 0, 13
	v_or_b32_e32 v14, 0x1000, v5
	v_med3_i32 v7, v7, 0, 13
	v_or_b32_e32 v15, 0x1000, v9
	v_lshrrev_b32_e32 v16, v12, v14
	v_lshrrev_b32_e32 v17, v7, v15
	v_lshlrev_b32_e32 v12, v12, v16
	v_lshlrev_b32_e32 v7, v7, v17
	v_cmp_ne_u32_e32 vcc_lo, v12, v14
	v_lshl_or_b32 v14, v11, 12, v5
	v_cndmask_b32_e64 v12, 0, 1, vcc_lo
	v_cmp_ne_u32_e32 vcc_lo, v7, v15
	v_lshl_or_b32 v15, v13, 12, v9
	v_or_b32_e32 v12, v16, v12
	v_cndmask_b32_e64 v7, 0, 1, vcc_lo
	v_cmp_gt_i32_e32 vcc_lo, 1, v11
	v_or_b32_e32 v7, v17, v7
	v_cndmask_b32_e32 v12, v14, v12, vcc_lo
	v_cmp_gt_i32_e32 vcc_lo, 1, v13
	v_and_b32_e32 v14, 7, v12
	v_cndmask_b32_e32 v7, v15, v7, vcc_lo
	v_cmp_ne_u32_e32 vcc_lo, 0, v5
	v_lshrrev_b32_e32 v12, 2, v12
	v_cmp_eq_u32_e64 s0, 3, v14
	v_and_b32_e32 v15, 7, v7
	v_cndmask_b32_e64 v5, 0, 1, vcc_lo
	v_cmp_ne_u32_e32 vcc_lo, 0, v9
	v_lshrrev_b32_e32 v7, 2, v7
	v_cmp_lt_i32_e64 s1, 5, v15
	v_cmp_eq_u32_e64 s2, 3, v15
	v_cndmask_b32_e64 v9, 0, 1, vcc_lo
	v_cmp_lt_i32_e32 vcc_lo, 5, v14
	v_lshl_or_b32 v5, v5, 9, 0x7c00
	v_lshl_or_b32 v9, v9, 9, 0x7c00
	s_or_b32 vcc_lo, s0, vcc_lo
	v_add_co_ci_u32_e32 v12, vcc_lo, 0, v12, vcc_lo
	s_or_b32 vcc_lo, s2, s1
	v_add_co_ci_u32_e32 v7, vcc_lo, 0, v7, vcc_lo
	v_cmp_gt_i32_e32 vcc_lo, 31, v11
	v_cndmask_b32_e32 v12, 0x7c00, v12, vcc_lo
	v_cmp_gt_i32_e32 vcc_lo, 31, v13
	v_cndmask_b32_e32 v7, 0x7c00, v7, vcc_lo
	v_cmp_eq_u32_e32 vcc_lo, 0x40f, v11
	v_cndmask_b32_e32 v5, v12, v5, vcc_lo
	v_cmp_eq_u32_e32 vcc_lo, 0x40f, v13
	v_and_or_b32 v5, 0x8000, v8, v5
	v_cndmask_b32_e32 v7, v7, v9, vcc_lo
	v_add_co_u32 v2, vcc_lo, v2, s4
	v_add_co_ci_u32_e32 v3, vcc_lo, s3, v3, vcc_lo
	v_and_or_b32 v7, 0x8000, v10, v7
	v_and_b32_e32 v5, 0xffff, v5
	v_lshl_or_b32 v5, v7, 16, v5
	v_lshrrev_b32_e32 v7, 16, v6
	global_store_dword v[2:3], v5, off
	global_load_dword v5, v[0:1], off offset:1032
	s_waitcnt vmcnt(0)
	v_mul_f16_sdwa v8, v7, v5 dst_sel:DWORD dst_unused:UNUSED_PAD src0_sel:DWORD src1_sel:WORD_1
	v_mul_f16_sdwa v9, v6, v5 dst_sel:DWORD dst_unused:UNUSED_PAD src0_sel:DWORD src1_sel:WORD_1
	v_fmac_f16_e32 v8, v6, v5
	v_fma_f16 v5, v5, v7, -v9
	v_cvt_f32_f16_e32 v6, v8
	v_cvt_f32_f16_e32 v7, v5
	v_cvt_f64_f32_e32 v[5:6], v6
	v_cvt_f64_f32_e32 v[7:8], v7
	v_mul_f64 v[5:6], v[5:6], s[12:13]
	v_mul_f64 v[7:8], v[7:8], s[12:13]
	v_and_or_b32 v5, 0x1ff, v6, v5
	v_and_or_b32 v7, 0x1ff, v8, v7
	v_lshrrev_b32_e32 v9, 8, v6
	v_bfe_u32 v10, v6, 20, 11
	v_lshrrev_b32_e32 v11, 8, v8
	v_cmp_ne_u32_e32 vcc_lo, 0, v5
	v_bfe_u32 v12, v8, 20, 11
	v_lshrrev_b32_e32 v6, 16, v6
	v_sub_nc_u32_e32 v13, 0x3f1, v10
	v_add_nc_u32_e32 v10, 0xfffffc10, v10
	v_cndmask_b32_e64 v5, 0, 1, vcc_lo
	v_cmp_ne_u32_e32 vcc_lo, 0, v7
	v_lshrrev_b32_e32 v8, 16, v8
	v_and_or_b32 v5, 0xffe, v9, v5
	v_cndmask_b32_e64 v7, 0, 1, vcc_lo
	v_sub_nc_u32_e32 v9, 0x3f1, v12
	v_add_nc_u32_e32 v12, 0xfffffc10, v12
	v_and_or_b32 v7, 0xffe, v11, v7
	v_med3_i32 v11, v13, 0, 13
	v_or_b32_e32 v13, 0x1000, v5
	v_med3_i32 v9, v9, 0, 13
	v_or_b32_e32 v14, 0x1000, v7
	v_lshrrev_b32_e32 v15, v11, v13
	v_lshrrev_b32_e32 v16, v9, v14
	v_lshlrev_b32_e32 v11, v11, v15
	v_lshlrev_b32_e32 v9, v9, v16
	v_cmp_ne_u32_e32 vcc_lo, v11, v13
	v_lshl_or_b32 v13, v10, 12, v5
	v_cndmask_b32_e64 v11, 0, 1, vcc_lo
	v_cmp_ne_u32_e32 vcc_lo, v9, v14
	v_lshl_or_b32 v14, v12, 12, v7
	v_or_b32_e32 v11, v15, v11
	v_cndmask_b32_e64 v9, 0, 1, vcc_lo
	v_cmp_gt_i32_e32 vcc_lo, 1, v10
	v_or_b32_e32 v9, v16, v9
	v_cndmask_b32_e32 v11, v13, v11, vcc_lo
	v_cmp_gt_i32_e32 vcc_lo, 1, v12
	v_and_b32_e32 v13, 7, v11
	v_cndmask_b32_e32 v9, v14, v9, vcc_lo
	v_cmp_ne_u32_e32 vcc_lo, 0, v5
	v_lshrrev_b32_e32 v11, 2, v11
	v_cmp_eq_u32_e64 s0, 3, v13
	v_and_b32_e32 v14, 7, v9
	v_cndmask_b32_e64 v5, 0, 1, vcc_lo
	v_cmp_ne_u32_e32 vcc_lo, 0, v7
	v_lshrrev_b32_e32 v9, 2, v9
	v_cmp_lt_i32_e64 s1, 5, v14
	v_cmp_eq_u32_e64 s2, 3, v14
	v_cndmask_b32_e64 v7, 0, 1, vcc_lo
	v_cmp_lt_i32_e32 vcc_lo, 5, v13
	v_lshl_or_b32 v5, v5, 9, 0x7c00
	v_lshl_or_b32 v7, v7, 9, 0x7c00
	s_or_b32 vcc_lo, s0, vcc_lo
	v_add_co_ci_u32_e32 v11, vcc_lo, 0, v11, vcc_lo
	s_or_b32 vcc_lo, s2, s1
	v_add_co_ci_u32_e32 v9, vcc_lo, 0, v9, vcc_lo
	v_cmp_gt_i32_e32 vcc_lo, 31, v10
	v_cndmask_b32_e32 v11, 0x7c00, v11, vcc_lo
	v_cmp_gt_i32_e32 vcc_lo, 31, v12
	v_cndmask_b32_e32 v9, 0x7c00, v9, vcc_lo
	v_cmp_eq_u32_e32 vcc_lo, 0x40f, v10
	v_cndmask_b32_e32 v5, v11, v5, vcc_lo
	v_cmp_eq_u32_e32 vcc_lo, 0x40f, v12
	v_and_or_b32 v5, 0x8000, v6, v5
	v_cndmask_b32_e32 v7, v9, v7, vcc_lo
	v_add_co_u32 v2, vcc_lo, v2, s4
	v_add_co_ci_u32_e32 v3, vcc_lo, s3, v3, vcc_lo
	v_and_or_b32 v6, 0x8000, v8, v7
	v_and_b32_e32 v5, 0xffff, v5
	v_lshl_or_b32 v5, v6, 16, v5
	global_store_dword v[2:3], v5, off
	global_load_dword v6, v[0:1], off offset:1252
	ds_read2_b32 v[4:5], v4 offset0:57 offset1:112
	s_waitcnt lgkmcnt(0)
	v_lshrrev_b32_e32 v7, 16, v4
	s_waitcnt vmcnt(0)
	v_mul_f16_sdwa v8, v7, v6 dst_sel:DWORD dst_unused:UNUSED_PAD src0_sel:DWORD src1_sel:WORD_1
	v_mul_f16_sdwa v9, v4, v6 dst_sel:DWORD dst_unused:UNUSED_PAD src0_sel:DWORD src1_sel:WORD_1
	v_fmac_f16_e32 v8, v4, v6
	v_fma_f16 v4, v6, v7, -v9
	v_cvt_f32_f16_e32 v6, v8
	v_cvt_f32_f16_e32 v4, v4
	v_cvt_f64_f32_e32 v[6:7], v6
	v_cvt_f64_f32_e32 v[8:9], v4
	v_mul_f64 v[6:7], v[6:7], s[12:13]
	v_mul_f64 v[8:9], v[8:9], s[12:13]
	v_and_or_b32 v4, 0x1ff, v7, v6
	v_and_or_b32 v8, 0x1ff, v9, v8
	v_lshrrev_b32_e32 v6, 8, v7
	v_bfe_u32 v10, v7, 20, 11
	v_lshrrev_b32_e32 v11, 8, v9
	v_cmp_ne_u32_e32 vcc_lo, 0, v4
	v_bfe_u32 v12, v9, 20, 11
	v_lshrrev_b32_e32 v7, 16, v7
	v_sub_nc_u32_e32 v13, 0x3f1, v10
	v_add_nc_u32_e32 v10, 0xfffffc10, v10
	v_cndmask_b32_e64 v4, 0, 1, vcc_lo
	v_cmp_ne_u32_e32 vcc_lo, 0, v8
	v_lshrrev_b32_e32 v9, 16, v9
	v_and_or_b32 v4, 0xffe, v6, v4
	v_cndmask_b32_e64 v8, 0, 1, vcc_lo
	v_sub_nc_u32_e32 v6, 0x3f1, v12
	v_add_nc_u32_e32 v12, 0xfffffc10, v12
	v_and_or_b32 v8, 0xffe, v11, v8
	v_med3_i32 v11, v13, 0, 13
	v_or_b32_e32 v13, 0x1000, v4
	v_med3_i32 v6, v6, 0, 13
	v_or_b32_e32 v14, 0x1000, v8
	v_lshrrev_b32_e32 v15, v11, v13
	v_lshrrev_b32_e32 v16, v6, v14
	v_lshlrev_b32_e32 v11, v11, v15
	v_lshlrev_b32_e32 v6, v6, v16
	v_cmp_ne_u32_e32 vcc_lo, v11, v13
	v_lshl_or_b32 v13, v10, 12, v4
	v_cndmask_b32_e64 v11, 0, 1, vcc_lo
	v_cmp_ne_u32_e32 vcc_lo, v6, v14
	v_lshl_or_b32 v14, v12, 12, v8
	v_or_b32_e32 v11, v15, v11
	v_cndmask_b32_e64 v6, 0, 1, vcc_lo
	v_cmp_gt_i32_e32 vcc_lo, 1, v10
	v_or_b32_e32 v6, v16, v6
	v_cndmask_b32_e32 v11, v13, v11, vcc_lo
	v_cmp_gt_i32_e32 vcc_lo, 1, v12
	v_and_b32_e32 v13, 7, v11
	v_cndmask_b32_e32 v6, v14, v6, vcc_lo
	v_cmp_ne_u32_e32 vcc_lo, 0, v4
	v_lshrrev_b32_e32 v11, 2, v11
	v_cmp_eq_u32_e64 s0, 3, v13
	v_and_b32_e32 v14, 7, v6
	v_cndmask_b32_e64 v4, 0, 1, vcc_lo
	v_cmp_ne_u32_e32 vcc_lo, 0, v8
	v_lshrrev_b32_e32 v6, 2, v6
	v_cmp_lt_i32_e64 s1, 5, v14
	v_cmp_eq_u32_e64 s2, 3, v14
	v_cndmask_b32_e64 v8, 0, 1, vcc_lo
	v_cmp_lt_i32_e32 vcc_lo, 5, v13
	v_lshl_or_b32 v4, v4, 9, 0x7c00
	v_lshl_or_b32 v8, v8, 9, 0x7c00
	s_or_b32 vcc_lo, s0, vcc_lo
	v_add_co_ci_u32_e32 v11, vcc_lo, 0, v11, vcc_lo
	s_or_b32 vcc_lo, s2, s1
	v_add_co_ci_u32_e32 v6, vcc_lo, 0, v6, vcc_lo
	v_cmp_gt_i32_e32 vcc_lo, 31, v10
	v_cndmask_b32_e32 v11, 0x7c00, v11, vcc_lo
	v_cmp_gt_i32_e32 vcc_lo, 31, v12
	v_cndmask_b32_e32 v6, 0x7c00, v6, vcc_lo
	v_cmp_eq_u32_e32 vcc_lo, 0x40f, v10
	v_cndmask_b32_e32 v4, v11, v4, vcc_lo
	v_cmp_eq_u32_e32 vcc_lo, 0x40f, v12
	v_and_or_b32 v4, 0x8000, v7, v4
	v_cndmask_b32_e32 v6, v6, v8, vcc_lo
	v_add_co_u32 v2, vcc_lo, v2, s4
	v_add_co_ci_u32_e32 v3, vcc_lo, s3, v3, vcc_lo
	v_and_or_b32 v6, 0x8000, v9, v6
	v_and_b32_e32 v4, 0xffff, v4
	v_lshl_or_b32 v4, v6, 16, v4
	global_store_dword v[2:3], v4, off
	global_load_dword v0, v[0:1], off offset:1472
	v_lshrrev_b32_e32 v1, 16, v5
	s_waitcnt vmcnt(0)
	v_mul_f16_sdwa v4, v1, v0 dst_sel:DWORD dst_unused:UNUSED_PAD src0_sel:DWORD src1_sel:WORD_1
	v_mul_f16_sdwa v6, v5, v0 dst_sel:DWORD dst_unused:UNUSED_PAD src0_sel:DWORD src1_sel:WORD_1
	v_fmac_f16_e32 v4, v5, v0
	v_fma_f16 v0, v0, v1, -v6
	v_cvt_f32_f16_e32 v1, v4
	v_cvt_f32_f16_e32 v4, v0
	v_cvt_f64_f32_e32 v[0:1], v1
	v_cvt_f64_f32_e32 v[4:5], v4
	v_mul_f64 v[0:1], v[0:1], s[12:13]
	v_mul_f64 v[4:5], v[4:5], s[12:13]
	v_and_or_b32 v0, 0x1ff, v1, v0
	v_and_or_b32 v4, 0x1ff, v5, v4
	v_lshrrev_b32_e32 v6, 8, v1
	v_bfe_u32 v7, v1, 20, 11
	v_lshrrev_b32_e32 v8, 8, v5
	v_cmp_ne_u32_e32 vcc_lo, 0, v0
	v_bfe_u32 v9, v5, 20, 11
	v_lshrrev_b32_e32 v1, 16, v1
	v_sub_nc_u32_e32 v10, 0x3f1, v7
	v_add_nc_u32_e32 v7, 0xfffffc10, v7
	v_cndmask_b32_e64 v0, 0, 1, vcc_lo
	v_cmp_ne_u32_e32 vcc_lo, 0, v4
	v_lshrrev_b32_e32 v5, 16, v5
	v_and_or_b32 v0, 0xffe, v6, v0
	v_cndmask_b32_e64 v4, 0, 1, vcc_lo
	v_sub_nc_u32_e32 v6, 0x3f1, v9
	v_add_nc_u32_e32 v9, 0xfffffc10, v9
	v_and_or_b32 v4, 0xffe, v8, v4
	v_med3_i32 v8, v10, 0, 13
	v_or_b32_e32 v10, 0x1000, v0
	v_med3_i32 v6, v6, 0, 13
	v_or_b32_e32 v11, 0x1000, v4
	v_lshrrev_b32_e32 v12, v8, v10
	v_lshrrev_b32_e32 v13, v6, v11
	v_lshlrev_b32_e32 v8, v8, v12
	v_lshlrev_b32_e32 v6, v6, v13
	v_cmp_ne_u32_e32 vcc_lo, v8, v10
	v_lshl_or_b32 v10, v7, 12, v0
	v_cndmask_b32_e64 v8, 0, 1, vcc_lo
	v_cmp_ne_u32_e32 vcc_lo, v6, v11
	v_lshl_or_b32 v11, v9, 12, v4
	v_or_b32_e32 v8, v12, v8
	v_cndmask_b32_e64 v6, 0, 1, vcc_lo
	v_cmp_gt_i32_e32 vcc_lo, 1, v7
	v_or_b32_e32 v6, v13, v6
	v_cndmask_b32_e32 v8, v10, v8, vcc_lo
	v_cmp_gt_i32_e32 vcc_lo, 1, v9
	v_and_b32_e32 v10, 7, v8
	v_cndmask_b32_e32 v6, v11, v6, vcc_lo
	v_cmp_ne_u32_e32 vcc_lo, 0, v0
	v_lshrrev_b32_e32 v8, 2, v8
	v_cmp_eq_u32_e64 s0, 3, v10
	v_and_b32_e32 v11, 7, v6
	v_cndmask_b32_e64 v0, 0, 1, vcc_lo
	v_cmp_ne_u32_e32 vcc_lo, 0, v4
	v_lshrrev_b32_e32 v6, 2, v6
	v_cmp_lt_i32_e64 s1, 5, v11
	v_cmp_eq_u32_e64 s2, 3, v11
	v_cndmask_b32_e64 v4, 0, 1, vcc_lo
	v_cmp_lt_i32_e32 vcc_lo, 5, v10
	v_lshl_or_b32 v0, v0, 9, 0x7c00
	v_lshl_or_b32 v4, v4, 9, 0x7c00
	s_or_b32 vcc_lo, s0, vcc_lo
	v_add_co_ci_u32_e32 v8, vcc_lo, 0, v8, vcc_lo
	s_or_b32 vcc_lo, s2, s1
	v_add_co_ci_u32_e32 v6, vcc_lo, 0, v6, vcc_lo
	v_cmp_gt_i32_e32 vcc_lo, 31, v7
	v_cndmask_b32_e32 v8, 0x7c00, v8, vcc_lo
	v_cmp_gt_i32_e32 vcc_lo, 31, v9
	v_cndmask_b32_e32 v6, 0x7c00, v6, vcc_lo
	v_cmp_eq_u32_e32 vcc_lo, 0x40f, v7
	v_cndmask_b32_e32 v0, v8, v0, vcc_lo
	v_cmp_eq_u32_e32 vcc_lo, 0x40f, v9
	v_and_or_b32 v0, 0x8000, v1, v0
	v_cndmask_b32_e32 v4, v6, v4, vcc_lo
	v_and_b32_e32 v0, 0xffff, v0
	v_and_or_b32 v1, 0x8000, v5, v4
	v_lshl_or_b32 v4, v1, 16, v0
	v_add_co_u32 v0, vcc_lo, v2, s4
	v_add_co_ci_u32_e32 v1, vcc_lo, s3, v3, vcc_lo
	global_store_dword v[0:1], v4, off
.LBB0_23:
	s_endpgm
	.section	.rodata,"a",@progbits
	.p2align	6, 0x0
	.amdhsa_kernel bluestein_single_fwd_len935_dim1_half_op_CI_CI
		.amdhsa_group_segment_fixed_size 11220
		.amdhsa_private_segment_fixed_size 0
		.amdhsa_kernarg_size 104
		.amdhsa_user_sgpr_count 6
		.amdhsa_user_sgpr_private_segment_buffer 1
		.amdhsa_user_sgpr_dispatch_ptr 0
		.amdhsa_user_sgpr_queue_ptr 0
		.amdhsa_user_sgpr_kernarg_segment_ptr 1
		.amdhsa_user_sgpr_dispatch_id 0
		.amdhsa_user_sgpr_flat_scratch_init 0
		.amdhsa_user_sgpr_private_segment_size 0
		.amdhsa_wavefront_size32 1
		.amdhsa_uses_dynamic_stack 0
		.amdhsa_system_sgpr_private_segment_wavefront_offset 0
		.amdhsa_system_sgpr_workgroup_id_x 1
		.amdhsa_system_sgpr_workgroup_id_y 0
		.amdhsa_system_sgpr_workgroup_id_z 0
		.amdhsa_system_sgpr_workgroup_info 0
		.amdhsa_system_vgpr_workitem_id 0
		.amdhsa_next_free_vgpr 209
		.amdhsa_next_free_sgpr 16
		.amdhsa_reserve_vcc 1
		.amdhsa_reserve_flat_scratch 0
		.amdhsa_float_round_mode_32 0
		.amdhsa_float_round_mode_16_64 0
		.amdhsa_float_denorm_mode_32 3
		.amdhsa_float_denorm_mode_16_64 3
		.amdhsa_dx10_clamp 1
		.amdhsa_ieee_mode 1
		.amdhsa_fp16_overflow 0
		.amdhsa_workgroup_processor_mode 1
		.amdhsa_memory_ordered 1
		.amdhsa_forward_progress 0
		.amdhsa_shared_vgpr_count 0
		.amdhsa_exception_fp_ieee_invalid_op 0
		.amdhsa_exception_fp_denorm_src 0
		.amdhsa_exception_fp_ieee_div_zero 0
		.amdhsa_exception_fp_ieee_overflow 0
		.amdhsa_exception_fp_ieee_underflow 0
		.amdhsa_exception_fp_ieee_inexact 0
		.amdhsa_exception_int_div_zero 0
	.end_amdhsa_kernel
	.text
.Lfunc_end0:
	.size	bluestein_single_fwd_len935_dim1_half_op_CI_CI, .Lfunc_end0-bluestein_single_fwd_len935_dim1_half_op_CI_CI
                                        ; -- End function
	.section	.AMDGPU.csdata,"",@progbits
; Kernel info:
; codeLenInByte = 32288
; NumSgprs: 18
; NumVgprs: 209
; ScratchSize: 0
; MemoryBound: 0
; FloatMode: 240
; IeeeMode: 1
; LDSByteSize: 11220 bytes/workgroup (compile time only)
; SGPRBlocks: 2
; VGPRBlocks: 26
; NumSGPRsForWavesPerEU: 18
; NumVGPRsForWavesPerEU: 209
; Occupancy: 4
; WaveLimiterHint : 1
; COMPUTE_PGM_RSRC2:SCRATCH_EN: 0
; COMPUTE_PGM_RSRC2:USER_SGPR: 6
; COMPUTE_PGM_RSRC2:TRAP_HANDLER: 0
; COMPUTE_PGM_RSRC2:TGID_X_EN: 1
; COMPUTE_PGM_RSRC2:TGID_Y_EN: 0
; COMPUTE_PGM_RSRC2:TGID_Z_EN: 0
; COMPUTE_PGM_RSRC2:TIDIG_COMP_CNT: 0
	.text
	.p2alignl 6, 3214868480
	.fill 48, 4, 3214868480
	.type	__hip_cuid_c6e79908ffa65d38,@object ; @__hip_cuid_c6e79908ffa65d38
	.section	.bss,"aw",@nobits
	.globl	__hip_cuid_c6e79908ffa65d38
__hip_cuid_c6e79908ffa65d38:
	.byte	0                               ; 0x0
	.size	__hip_cuid_c6e79908ffa65d38, 1

	.ident	"AMD clang version 19.0.0git (https://github.com/RadeonOpenCompute/llvm-project roc-6.4.0 25133 c7fe45cf4b819c5991fe208aaa96edf142730f1d)"
	.section	".note.GNU-stack","",@progbits
	.addrsig
	.addrsig_sym __hip_cuid_c6e79908ffa65d38
	.amdgpu_metadata
---
amdhsa.kernels:
  - .args:
      - .actual_access:  read_only
        .address_space:  global
        .offset:         0
        .size:           8
        .value_kind:     global_buffer
      - .actual_access:  read_only
        .address_space:  global
        .offset:         8
        .size:           8
        .value_kind:     global_buffer
      - .actual_access:  read_only
        .address_space:  global
        .offset:         16
        .size:           8
        .value_kind:     global_buffer
      - .actual_access:  read_only
        .address_space:  global
        .offset:         24
        .size:           8
        .value_kind:     global_buffer
      - .actual_access:  read_only
        .address_space:  global
        .offset:         32
        .size:           8
        .value_kind:     global_buffer
      - .offset:         40
        .size:           8
        .value_kind:     by_value
      - .address_space:  global
        .offset:         48
        .size:           8
        .value_kind:     global_buffer
      - .address_space:  global
        .offset:         56
        .size:           8
        .value_kind:     global_buffer
      - .address_space:  global
        .offset:         64
        .size:           8
        .value_kind:     global_buffer
      - .address_space:  global
        .offset:         72
        .size:           8
        .value_kind:     global_buffer
      - .offset:         80
        .size:           4
        .value_kind:     by_value
      - .address_space:  global
        .offset:         88
        .size:           8
        .value_kind:     global_buffer
      - .address_space:  global
        .offset:         96
        .size:           8
        .value_kind:     global_buffer
    .group_segment_fixed_size: 11220
    .kernarg_segment_align: 8
    .kernarg_segment_size: 104
    .language:       OpenCL C
    .language_version:
      - 2
      - 0
    .max_flat_workgroup_size: 255
    .name:           bluestein_single_fwd_len935_dim1_half_op_CI_CI
    .private_segment_fixed_size: 0
    .sgpr_count:     18
    .sgpr_spill_count: 0
    .symbol:         bluestein_single_fwd_len935_dim1_half_op_CI_CI.kd
    .uniform_work_group_size: 1
    .uses_dynamic_stack: false
    .vgpr_count:     209
    .vgpr_spill_count: 0
    .wavefront_size: 32
    .workgroup_processor_mode: 1
amdhsa.target:   amdgcn-amd-amdhsa--gfx1030
amdhsa.version:
  - 1
  - 2
...

	.end_amdgpu_metadata
